;; amdgpu-corpus repo=ROCm/rocBLAS kind=compiled arch=gfx1100 opt=O3
	.text
	.amdgcn_target "amdgcn-amd-amdhsa--gfx1100"
	.amdhsa_code_object_version 6
	.section	.text._ZL19rocblas_sbmv_kernelILb1ELi64ELi16EPKfS1_PfEviiT2_lT3_lllS4_lllS3_lT4_llli,"axG",@progbits,_ZL19rocblas_sbmv_kernelILb1ELi64ELi16EPKfS1_PfEviiT2_lT3_lllS4_lllS3_lT4_llli,comdat
	.globl	_ZL19rocblas_sbmv_kernelILb1ELi64ELi16EPKfS1_PfEviiT2_lT3_lllS4_lllS3_lT4_llli ; -- Begin function _ZL19rocblas_sbmv_kernelILb1ELi64ELi16EPKfS1_PfEviiT2_lT3_lllS4_lllS3_lT4_llli
	.p2align	8
	.type	_ZL19rocblas_sbmv_kernelILb1ELi64ELi16EPKfS1_PfEviiT2_lT3_lllS4_lllS3_lT4_llli,@function
_ZL19rocblas_sbmv_kernelILb1ELi64ELi16EPKfS1_PfEviiT2_lT3_lllS4_lllS3_lT4_llli: ; @_ZL19rocblas_sbmv_kernelILb1ELi64ELi16EPKfS1_PfEviiT2_lT3_lllS4_lllS3_lT4_llli
; %bb.0:
	s_load_b64 s[2:3], s[0:1], 0x9c
	s_waitcnt lgkmcnt(0)
	s_lshr_b32 s5, s2, 16
	s_and_b32 s4, s2, 0xffff
	s_and_b32 s2, s3, 0xffff
	s_mul_i32 s3, s5, s4
	s_delay_alu instid0(SALU_CYCLE_1) | instskip(NEXT) | instid1(SALU_CYCLE_1)
	s_mul_i32 s3, s3, s2
	s_cmpk_lg_i32 s3, 0x400
	s_cbranch_scc1 .LBB0_32
; %bb.1:
	s_clause 0x1
	s_load_b512 s[36:51], s[0:1], 0x8
	s_load_b512 s[16:31], s[0:1], 0x48
	s_mov_b32 s9, 0
	s_waitcnt lgkmcnt(0)
	s_mul_i32 s3, s15, s39
	s_mul_hi_u32 s5, s15, s38
	s_mul_i32 s2, s15, s38
	s_add_i32 s3, s5, s3
	s_mul_i32 s5, s15, s23
	s_lshl_b64 s[2:3], s[2:3], 2
	s_mul_hi_u32 s6, s15, s22
	s_add_u32 s2, s36, s2
	s_addc_u32 s3, s37, s3
	s_add_i32 s7, s6, s5
	s_mul_i32 s6, s15, s22
	s_delay_alu instid0(SALU_CYCLE_1) | instskip(NEXT) | instid1(SALU_CYCLE_1)
	s_lshl_b64 s[6:7], s[6:7], 2
	s_add_u32 s6, s20, s6
	s_addc_u32 s7, s21, s7
	s_load_b32 s10, s[2:3], 0x0
	s_load_b32 s8, s[6:7], 0x0
	s_waitcnt lgkmcnt(0)
	v_cmp_eq_f32_e64 s2, s10, 0
	v_cmp_eq_f32_e64 s3, s8, 1.0
	s_delay_alu instid0(VALU_DEP_1) | instskip(NEXT) | instid1(SALU_CYCLE_1)
	s_and_b32 s2, s2, s3
	s_and_b32 vcc_lo, exec_lo, s2
	s_cbranch_vccnz .LBB0_32
; %bb.2:
	s_load_b64 s[2:3], s[0:1], 0x0
	v_and_b32_e32 v1, 0x3ff, v0
	v_bfe_u32 v0, v0, 10, 10
	s_mul_i32 s5, s15, s31
	s_mul_hi_u32 s6, s15, s30
	s_mul_i32 s0, s15, s30
	s_add_i32 s1, s6, s5
	v_mad_u32_u24 v10, v0, s4, v1
	s_lshl_b64 s[0:1], s[0:1], 2
	v_cmp_neq_f32_e64 s11, s10, 0
	s_add_u32 s5, s24, s0
	s_addc_u32 s7, s25, s1
	s_lshl_b64 s[0:1], s[26:27], 2
	s_delay_alu instid0(SALU_CYCLE_1)
	s_add_u32 s6, s5, s0
	v_cmp_gt_u32_e64 s0, 64, v10
	s_addc_u32 s7, s7, s1
	s_and_b32 vcc_lo, exec_lo, s11
	s_cbranch_vccnz .LBB0_7
; %bb.3:
	v_lshl_add_u32 v3, s14, 6, v10
	s_mov_b32 s1, 0
                                        ; implicit-def: $vgpr2
                                        ; implicit-def: $vgpr0_vgpr1
	s_waitcnt lgkmcnt(0)
	s_delay_alu instid0(VALU_DEP_1) | instskip(SKIP_1) | instid1(SALU_CYCLE_1)
	v_cmp_gt_i32_e32 vcc_lo, s2, v3
	s_and_b32 s4, s0, vcc_lo
	s_and_saveexec_b32 s0, s4
	s_cbranch_execz .LBB0_8
; %bb.4:
	v_ashrrev_i32_e32 v2, 31, v3
	v_mul_lo_u32 v4, v3, s29
	v_mad_u64_u32 v[0:1], null, v3, s28, 0
	v_cmp_eq_f32_e64 s4, s8, 0
	s_delay_alu instid0(VALU_DEP_4) | instskip(NEXT) | instid1(VALU_DEP_2)
	v_mul_lo_u32 v2, v2, s28
	s_and_b32 vcc_lo, exec_lo, s4
	s_delay_alu instid0(VALU_DEP_1)
	v_add3_u32 v1, v1, v4, v2
	v_mov_b32_e32 v2, 0
	s_cbranch_vccnz .LBB0_6
; %bb.5:
	s_delay_alu instid0(VALU_DEP_2) | instskip(NEXT) | instid1(VALU_DEP_1)
	v_lshlrev_b64 v[2:3], 2, v[0:1]
	v_add_co_u32 v2, vcc_lo, s6, v2
	s_delay_alu instid0(VALU_DEP_2)
	v_add_co_ci_u32_e32 v3, vcc_lo, s7, v3, vcc_lo
	global_load_b32 v2, v[2:3], off
	s_waitcnt vmcnt(0)
	v_mul_f32_e32 v2, s8, v2
.LBB0_6:
	s_mov_b32 s9, exec_lo
	s_or_b32 exec_lo, exec_lo, s0
	s_delay_alu instid0(SALU_CYCLE_1)
	s_and_b32 vcc_lo, exec_lo, s1
	s_cbranch_vccnz .LBB0_9
	s_branch .LBB0_30
.LBB0_7:
                                        ; implicit-def: $vgpr2
                                        ; implicit-def: $vgpr0_vgpr1
	s_cbranch_execnz .LBB0_9
	s_branch .LBB0_30
.LBB0_8:
	s_or_b32 exec_lo, exec_lo, s0
	s_delay_alu instid0(SALU_CYCLE_1)
	s_and_b32 vcc_lo, exec_lo, s1
	s_cbranch_vccz .LBB0_30
.LBB0_9:
	v_lshrrev_b32_e32 v0, 6, v10
	v_mov_b32_e32 v12, 0
	s_lshl_b32 s11, s14, 6
	s_mov_b32 s12, exec_lo
	s_waitcnt lgkmcnt(0)
	v_cmpx_gt_i32_e64 s2, v0
	s_cbranch_execz .LBB0_25
; %bb.10:
	s_mul_i32 s1, s15, s47
	s_mul_hi_u32 s4, s15, s46
	s_mul_i32 s0, s15, s46
	s_add_i32 s1, s4, s1
	v_and_b32_e32 v7, 63, v10
	s_lshl_b64 s[4:5], s[0:1], 2
	s_mul_hi_u32 s13, s15, s18
	s_add_u32 s0, s40, s4
	s_addc_u32 s1, s41, s5
	s_lshl_b64 s[20:21], s[42:43], 2
	v_or_b32_e32 v11, s11, v7
	s_add_u32 s22, s0, s20
	s_mul_i32 s0, s15, s19
	s_addc_u32 s19, s1, s21
	s_add_i32 s1, s13, s0
	s_mul_i32 s0, s15, s18
	v_mad_u64_u32 v[4:5], null, s44, v0, 0
	s_lshl_b64 s[0:1], s[0:1], 2
	v_mul_lo_u32 v6, v11, s45
	s_add_u32 s13, s48, s0
	v_mad_u64_u32 v[1:2], null, v11, s44, 0
	s_addc_u32 s14, s49, s1
	s_lshl_b64 s[0:1], s[50:51], 2
	s_delay_alu instid0(VALU_DEP_3)
	v_mov_b32_e32 v3, v5
	s_add_u32 s13, s13, s0
	s_addc_u32 s14, s14, s1
	s_ashr_i32 s0, s11, 31
	v_cmp_gt_i32_e32 vcc_lo, s2, v11
	s_mul_i32 s0, s0, s44
	s_mov_b32 s15, 0
	v_add3_u32 v2, v2, v6, s0
	v_mad_u64_u32 v[5:6], null, s45, v0, v[3:4]
	v_mov_b32_e32 v3, 0
	s_delay_alu instid0(VALU_DEP_3) | instskip(NEXT) | instid1(VALU_DEP_2)
	v_lshlrev_b64 v[1:2], 2, v[1:2]
	v_mov_b32_e32 v12, v3
	s_delay_alu instid0(VALU_DEP_4) | instskip(NEXT) | instid1(VALU_DEP_3)
	v_lshlrev_b64 v[4:5], 2, v[4:5]
	v_add_co_u32 v13, s0, s22, v1
	s_delay_alu instid0(VALU_DEP_1)
	v_add_co_ci_u32_e64 v14, s0, s19, v2, s0
	s_add_u32 s0, s40, s20
	v_mov_b32_e32 v1, v3
	s_addc_u32 s1, s41, s21
	s_add_u32 s0, s0, s4
	s_addc_u32 s1, s1, s5
	v_add_co_u32 v16, s0, s0, v4
	s_delay_alu instid0(VALU_DEP_1) | instskip(SKIP_4) | instid1(VALU_DEP_2)
	v_add_co_ci_u32_e64 v17, s0, s1, v5, s0
	v_dual_mov_b32 v5, v1 :: v_dual_mov_b32 v4, v0
	v_sub_nc_u32_e32 v6, s3, v7
	v_add3_u32 v2, s3, s11, v7
	s_lshl_b64 s[4:5], s[44:45], 6
	v_subrev_nc_u32_e32 v15, s11, v6
	s_delay_alu instid0(VALU_DEP_2)
	v_sub_nc_u32_e32 v2, v2, v0
	s_branch .LBB0_13
.LBB0_11:                               ;   in Loop: Header=BB0_13 Depth=1
	s_or_b32 exec_lo, exec_lo, s1
.LBB0_12:                               ;   in Loop: Header=BB0_13 Depth=1
	s_delay_alu instid0(SALU_CYCLE_1) | instskip(SKIP_1) | instid1(VALU_DEP_1)
	s_or_b32 exec_lo, exec_lo, s18
	v_add_co_u32 v4, s0, v4, 16
	v_add_co_ci_u32_e64 v5, s0, 0, v5, s0
	v_add_co_u32 v16, s1, v16, s4
	s_delay_alu instid0(VALU_DEP_3) | instskip(SKIP_3) | instid1(VALU_DEP_4)
	v_cmp_le_i32_e64 s0, s2, v4
	v_add_nc_u32_e32 v0, 16, v0
	v_add_co_ci_u32_e64 v17, s1, s5, v17, s1
	v_add_nc_u32_e32 v2, -16, v2
	s_or_b32 s15, s0, s15
	s_delay_alu instid0(SALU_CYCLE_1)
	s_and_not1_b32 exec_lo, exec_lo, s15
	s_cbranch_execz .LBB0_24
.LBB0_13:                               ; =>This Inner Loop Header: Depth=1
	s_and_saveexec_b32 s18, vcc_lo
	s_cbranch_execz .LBB0_12
; %bb.14:                               ;   in Loop: Header=BB0_13 Depth=1
	s_mov_b32 s19, 0
                                        ; implicit-def: $vgpr6_vgpr7
                                        ; implicit-def: $vgpr8_vgpr9
	s_mov_b32 s1, exec_lo
	v_cmpx_ge_i32_e64 v4, v11
	s_xor_b32 s20, exec_lo, s1
	s_cbranch_execnz .LBB0_17
; %bb.15:                               ;   in Loop: Header=BB0_13 Depth=1
	s_and_not1_saveexec_b32 s20, s20
	s_cbranch_execnz .LBB0_20
.LBB0_16:                               ;   in Loop: Header=BB0_13 Depth=1
	s_or_b32 exec_lo, exec_lo, s20
	s_and_saveexec_b32 s1, s19
	s_cbranch_execz .LBB0_11
	s_branch .LBB0_23
.LBB0_17:                               ;   in Loop: Header=BB0_13 Depth=1
	v_cmp_ge_i32_e64 s0, s3, v2
	v_cmp_lt_i32_e64 s1, -1, v2
                                        ; implicit-def: $vgpr6_vgpr7
                                        ; implicit-def: $vgpr8_vgpr9
	s_delay_alu instid0(VALU_DEP_1) | instskip(SKIP_2) | instid1(SALU_CYCLE_1)
	s_and_b32 s0, s0, s1
	s_mov_b32 s1, 0
	s_and_saveexec_b32 s19, s0
	s_xor_b32 s19, exec_lo, s19
; %bb.18:                               ;   in Loop: Header=BB0_13 Depth=1
	v_lshlrev_b64 v[6:7], 2, v[2:3]
	v_mov_b32_e32 v1, v3
	s_mov_b32 s1, exec_lo
	s_delay_alu instid0(VALU_DEP_1) | instskip(NEXT) | instid1(VALU_DEP_3)
	v_dual_mov_b32 v9, v1 :: v_dual_mov_b32 v8, v0
	v_add_co_u32 v6, s0, v16, v6
	s_delay_alu instid0(VALU_DEP_1)
	v_add_co_ci_u32_e64 v7, s0, v17, v7, s0
; %bb.19:                               ;   in Loop: Header=BB0_13 Depth=1
	s_or_b32 exec_lo, exec_lo, s19
	s_delay_alu instid0(SALU_CYCLE_1)
	s_and_b32 s19, s1, exec_lo
	s_and_not1_saveexec_b32 s20, s20
	s_cbranch_execz .LBB0_16
.LBB0_20:                               ;   in Loop: Header=BB0_13 Depth=1
	v_add_nc_u32_e32 v8, v15, v4
                                        ; implicit-def: $vgpr6_vgpr7
	s_delay_alu instid0(VALU_DEP_1) | instskip(SKIP_1) | instid1(VALU_DEP_1)
	v_cmp_ge_i32_e64 s0, s3, v8
	v_cmp_lt_i32_e64 s1, -1, v8
	s_and_b32 s21, s0, s1
	s_mov_b32 s0, s19
	s_and_saveexec_b32 s1, s21
; %bb.21:                               ;   in Loop: Header=BB0_13 Depth=1
	v_mov_b32_e32 v9, v3
	s_delay_alu instid0(VALU_DEP_1) | instskip(NEXT) | instid1(VALU_DEP_1)
	v_lshlrev_b64 v[6:7], 2, v[8:9]
	v_add_co_u32 v6, s0, v13, v6
	s_delay_alu instid0(VALU_DEP_1)
	v_add_co_ci_u32_e64 v7, s0, v14, v7, s0
	s_or_b32 s0, s19, exec_lo
; %bb.22:                               ;   in Loop: Header=BB0_13 Depth=1
	s_or_b32 exec_lo, exec_lo, s1
	v_dual_mov_b32 v9, v5 :: v_dual_mov_b32 v8, v4
	s_and_not1_b32 s1, s19, exec_lo
	s_and_b32 s0, s0, exec_lo
	s_delay_alu instid0(SALU_CYCLE_1)
	s_or_b32 s19, s1, s0
	s_or_b32 exec_lo, exec_lo, s20
	s_and_saveexec_b32 s1, s19
	s_cbranch_execz .LBB0_11
.LBB0_23:                               ;   in Loop: Header=BB0_13 Depth=1
	v_mul_lo_u32 v1, v9, s16
	v_mul_lo_u32 v9, v8, s17
	v_mad_u64_u32 v[18:19], null, v8, s16, 0
	s_delay_alu instid0(VALU_DEP_1) | instskip(NEXT) | instid1(VALU_DEP_1)
	v_add3_u32 v19, v19, v9, v1
	v_lshlrev_b64 v[8:9], 2, v[18:19]
	s_delay_alu instid0(VALU_DEP_1) | instskip(NEXT) | instid1(VALU_DEP_1)
	v_add_co_u32 v8, s0, s13, v8
	v_add_co_ci_u32_e64 v9, s0, s14, v9, s0
	global_load_b32 v1, v[6:7], off
	global_load_b32 v6, v[8:9], off
	s_waitcnt vmcnt(0)
	v_fmac_f32_e32 v12, v1, v6
	s_branch .LBB0_11
.LBB0_24:
	s_or_b32 exec_lo, exec_lo, s15
.LBB0_25:
	s_delay_alu instid0(SALU_CYCLE_1) | instskip(SKIP_3) | instid1(VALU_DEP_3)
	s_or_b32 exec_lo, exec_lo, s12
	v_add_nc_u32_e32 v4, s11, v10
	v_cmp_gt_u32_e32 vcc_lo, 64, v10
	v_lshlrev_b32_e32 v3, 2, v10
                                        ; implicit-def: $vgpr2
                                        ; implicit-def: $vgpr0_vgpr1
	v_cmp_gt_i32_e64 s0, s2, v4
	ds_store_b32 v3, v12
	s_waitcnt lgkmcnt(0)
	s_barrier
	s_and_b32 s1, vcc_lo, s0
	buffer_gl0_inv
	s_and_saveexec_b32 s0, s1
	s_cbranch_execz .LBB0_29
; %bb.26:
	ds_load_2addr_stride64_b32 v[0:1], v3 offset1:1
	ds_load_2addr_stride64_b32 v[5:6], v3 offset0:2 offset1:3
	ds_load_2addr_stride64_b32 v[7:8], v3 offset0:4 offset1:5
	;; [unrolled: 1-line block ×3, first 2 shown]
	v_cmp_eq_f32_e64 s1, s8, 0
	s_delay_alu instid0(VALU_DEP_1) | instskip(SKIP_3) | instid1(VALU_DEP_1)
	s_and_b32 vcc_lo, exec_lo, s1
	s_waitcnt lgkmcnt(3)
	v_add_f32_e32 v0, v0, v1
	s_waitcnt lgkmcnt(2)
	v_add_f32_e32 v0, v5, v0
	s_delay_alu instid0(VALU_DEP_1)
	v_add_f32_e32 v0, v6, v0
	ds_load_2addr_stride64_b32 v[5:6], v3 offset0:10 offset1:11
	s_waitcnt lgkmcnt(2)
	v_add_f32_e32 v2, v7, v0
	ds_load_2addr_stride64_b32 v[0:1], v3 offset0:8 offset1:9
	v_add_f32_e32 v2, v8, v2
	s_waitcnt lgkmcnt(2)
	s_delay_alu instid0(VALU_DEP_1) | instskip(NEXT) | instid1(VALU_DEP_1)
	v_add_f32_e32 v2, v9, v2
	v_add_f32_e32 v2, v10, v2
	ds_load_2addr_stride64_b32 v[7:8], v3 offset0:12 offset1:13
	ds_load_2addr_stride64_b32 v[9:10], v3 offset0:14 offset1:15
	s_waitcnt lgkmcnt(2)
	v_add_f32_e32 v0, v0, v2
	s_delay_alu instid0(VALU_DEP_1) | instskip(NEXT) | instid1(VALU_DEP_1)
	v_add_f32_e32 v0, v1, v0
	v_add_f32_e32 v0, v5, v0
	v_ashrrev_i32_e32 v5, 31, v4
	s_delay_alu instid0(VALU_DEP_2) | instskip(SKIP_2) | instid1(VALU_DEP_2)
	v_add_f32_e32 v0, v6, v0
	v_mul_lo_u32 v6, v4, s29
	s_waitcnt lgkmcnt(1)
	v_add_f32_e32 v0, v7, v0
	s_delay_alu instid0(VALU_DEP_1) | instskip(SKIP_3) | instid1(VALU_DEP_3)
	v_add_f32_e32 v2, v8, v0
	v_mad_u64_u32 v[0:1], null, v4, s28, 0
	v_mul_lo_u32 v4, v5, s28
	s_waitcnt lgkmcnt(0)
	v_add_f32_e32 v2, v9, v2
	s_delay_alu instid0(VALU_DEP_1) | instskip(NEXT) | instid1(VALU_DEP_3)
	v_add_f32_e32 v5, v10, v2
	v_add3_u32 v1, v1, v6, v4
	s_delay_alu instid0(VALU_DEP_2)
	v_mul_f32_e32 v2, s10, v5
	ds_store_b32 v3, v5
	s_cbranch_vccnz .LBB0_28
; %bb.27:
	v_lshlrev_b64 v[3:4], 2, v[0:1]
	s_delay_alu instid0(VALU_DEP_1) | instskip(NEXT) | instid1(VALU_DEP_2)
	v_add_co_u32 v3, vcc_lo, s6, v3
	v_add_co_ci_u32_e32 v4, vcc_lo, s7, v4, vcc_lo
	global_load_b32 v3, v[3:4], off
	s_waitcnt vmcnt(0)
	v_fmac_f32_e32 v2, s8, v3
.LBB0_28:
	s_or_b32 s9, s9, exec_lo
.LBB0_29:
	s_or_b32 exec_lo, exec_lo, s0
.LBB0_30:
	s_and_saveexec_b32 s0, s9
	s_cbranch_execz .LBB0_32
; %bb.31:
	v_lshlrev_b64 v[0:1], 2, v[0:1]
	s_delay_alu instid0(VALU_DEP_1) | instskip(NEXT) | instid1(VALU_DEP_2)
	v_add_co_u32 v0, vcc_lo, s6, v0
	v_add_co_ci_u32_e32 v1, vcc_lo, s7, v1, vcc_lo
	global_store_b32 v[0:1], v2, off
.LBB0_32:
	s_nop 0
	s_sendmsg sendmsg(MSG_DEALLOC_VGPRS)
	s_endpgm
	.section	.rodata,"a",@progbits
	.p2align	6, 0x0
	.amdhsa_kernel _ZL19rocblas_sbmv_kernelILb1ELi64ELi16EPKfS1_PfEviiT2_lT3_lllS4_lllS3_lT4_llli
		.amdhsa_group_segment_fixed_size 4096
		.amdhsa_private_segment_fixed_size 0
		.amdhsa_kernarg_size 400
		.amdhsa_user_sgpr_count 14
		.amdhsa_user_sgpr_dispatch_ptr 0
		.amdhsa_user_sgpr_queue_ptr 0
		.amdhsa_user_sgpr_kernarg_segment_ptr 1
		.amdhsa_user_sgpr_dispatch_id 0
		.amdhsa_user_sgpr_private_segment_size 0
		.amdhsa_wavefront_size32 1
		.amdhsa_uses_dynamic_stack 0
		.amdhsa_enable_private_segment 0
		.amdhsa_system_sgpr_workgroup_id_x 1
		.amdhsa_system_sgpr_workgroup_id_y 0
		.amdhsa_system_sgpr_workgroup_id_z 1
		.amdhsa_system_sgpr_workgroup_info 0
		.amdhsa_system_vgpr_workitem_id 1
		.amdhsa_next_free_vgpr 20
		.amdhsa_next_free_sgpr 52
		.amdhsa_reserve_vcc 1
		.amdhsa_float_round_mode_32 0
		.amdhsa_float_round_mode_16_64 0
		.amdhsa_float_denorm_mode_32 3
		.amdhsa_float_denorm_mode_16_64 3
		.amdhsa_dx10_clamp 1
		.amdhsa_ieee_mode 1
		.amdhsa_fp16_overflow 0
		.amdhsa_workgroup_processor_mode 1
		.amdhsa_memory_ordered 1
		.amdhsa_forward_progress 0
		.amdhsa_shared_vgpr_count 0
		.amdhsa_exception_fp_ieee_invalid_op 0
		.amdhsa_exception_fp_denorm_src 0
		.amdhsa_exception_fp_ieee_div_zero 0
		.amdhsa_exception_fp_ieee_overflow 0
		.amdhsa_exception_fp_ieee_underflow 0
		.amdhsa_exception_fp_ieee_inexact 0
		.amdhsa_exception_int_div_zero 0
	.end_amdhsa_kernel
	.section	.text._ZL19rocblas_sbmv_kernelILb1ELi64ELi16EPKfS1_PfEviiT2_lT3_lllS4_lllS3_lT4_llli,"axG",@progbits,_ZL19rocblas_sbmv_kernelILb1ELi64ELi16EPKfS1_PfEviiT2_lT3_lllS4_lllS3_lT4_llli,comdat
.Lfunc_end0:
	.size	_ZL19rocblas_sbmv_kernelILb1ELi64ELi16EPKfS1_PfEviiT2_lT3_lllS4_lllS3_lT4_llli, .Lfunc_end0-_ZL19rocblas_sbmv_kernelILb1ELi64ELi16EPKfS1_PfEviiT2_lT3_lllS4_lllS3_lT4_llli
                                        ; -- End function
	.section	.AMDGPU.csdata,"",@progbits
; Kernel info:
; codeLenInByte = 1664
; NumSgprs: 54
; NumVgprs: 20
; ScratchSize: 0
; MemoryBound: 0
; FloatMode: 240
; IeeeMode: 1
; LDSByteSize: 4096 bytes/workgroup (compile time only)
; SGPRBlocks: 6
; VGPRBlocks: 2
; NumSGPRsForWavesPerEU: 54
; NumVGPRsForWavesPerEU: 20
; Occupancy: 16
; WaveLimiterHint : 0
; COMPUTE_PGM_RSRC2:SCRATCH_EN: 0
; COMPUTE_PGM_RSRC2:USER_SGPR: 14
; COMPUTE_PGM_RSRC2:TRAP_HANDLER: 0
; COMPUTE_PGM_RSRC2:TGID_X_EN: 1
; COMPUTE_PGM_RSRC2:TGID_Y_EN: 0
; COMPUTE_PGM_RSRC2:TGID_Z_EN: 1
; COMPUTE_PGM_RSRC2:TIDIG_COMP_CNT: 1
	.section	.text._ZL19rocblas_sbmv_kernelILb0ELi64ELi16EPKfS1_PfEviiT2_lT3_lllS4_lllS3_lT4_llli,"axG",@progbits,_ZL19rocblas_sbmv_kernelILb0ELi64ELi16EPKfS1_PfEviiT2_lT3_lllS4_lllS3_lT4_llli,comdat
	.globl	_ZL19rocblas_sbmv_kernelILb0ELi64ELi16EPKfS1_PfEviiT2_lT3_lllS4_lllS3_lT4_llli ; -- Begin function _ZL19rocblas_sbmv_kernelILb0ELi64ELi16EPKfS1_PfEviiT2_lT3_lllS4_lllS3_lT4_llli
	.p2align	8
	.type	_ZL19rocblas_sbmv_kernelILb0ELi64ELi16EPKfS1_PfEviiT2_lT3_lllS4_lllS3_lT4_llli,@function
_ZL19rocblas_sbmv_kernelILb0ELi64ELi16EPKfS1_PfEviiT2_lT3_lllS4_lllS3_lT4_llli: ; @_ZL19rocblas_sbmv_kernelILb0ELi64ELi16EPKfS1_PfEviiT2_lT3_lllS4_lllS3_lT4_llli
; %bb.0:
	s_load_b64 s[2:3], s[0:1], 0x9c
	s_waitcnt lgkmcnt(0)
	s_lshr_b32 s5, s2, 16
	s_and_b32 s4, s2, 0xffff
	s_and_b32 s2, s3, 0xffff
	s_mul_i32 s3, s5, s4
	s_delay_alu instid0(SALU_CYCLE_1) | instskip(NEXT) | instid1(SALU_CYCLE_1)
	s_mul_i32 s3, s3, s2
	s_cmpk_lg_i32 s3, 0x400
	s_cbranch_scc1 .LBB1_32
; %bb.1:
	s_clause 0x1
	s_load_b512 s[36:51], s[0:1], 0x8
	s_load_b512 s[16:31], s[0:1], 0x48
	s_mov_b32 s9, 0
	s_waitcnt lgkmcnt(0)
	s_mul_i32 s3, s15, s39
	s_mul_hi_u32 s5, s15, s38
	s_mul_i32 s2, s15, s38
	s_add_i32 s3, s5, s3
	s_mul_i32 s5, s15, s23
	s_lshl_b64 s[2:3], s[2:3], 2
	s_mul_hi_u32 s6, s15, s22
	s_add_u32 s2, s36, s2
	s_addc_u32 s3, s37, s3
	s_add_i32 s7, s6, s5
	s_mul_i32 s6, s15, s22
	s_delay_alu instid0(SALU_CYCLE_1) | instskip(NEXT) | instid1(SALU_CYCLE_1)
	s_lshl_b64 s[6:7], s[6:7], 2
	s_add_u32 s6, s20, s6
	s_addc_u32 s7, s21, s7
	s_load_b32 s10, s[2:3], 0x0
	s_load_b32 s8, s[6:7], 0x0
	s_waitcnt lgkmcnt(0)
	v_cmp_eq_f32_e64 s2, s10, 0
	v_cmp_eq_f32_e64 s3, s8, 1.0
	s_delay_alu instid0(VALU_DEP_1) | instskip(NEXT) | instid1(SALU_CYCLE_1)
	s_and_b32 s2, s2, s3
	s_and_b32 vcc_lo, exec_lo, s2
	s_cbranch_vccnz .LBB1_32
; %bb.2:
	s_load_b64 s[2:3], s[0:1], 0x0
	v_and_b32_e32 v1, 0x3ff, v0
	v_bfe_u32 v0, v0, 10, 10
	s_mul_i32 s5, s15, s31
	s_mul_hi_u32 s6, s15, s30
	s_mul_i32 s0, s15, s30
	s_add_i32 s1, s6, s5
	v_mad_u32_u24 v10, v0, s4, v1
	s_lshl_b64 s[0:1], s[0:1], 2
	v_cmp_neq_f32_e64 s11, s10, 0
	s_add_u32 s5, s24, s0
	s_addc_u32 s7, s25, s1
	s_lshl_b64 s[0:1], s[26:27], 2
	s_delay_alu instid0(SALU_CYCLE_1)
	s_add_u32 s6, s5, s0
	v_cmp_gt_u32_e64 s0, 64, v10
	s_addc_u32 s7, s7, s1
	s_and_b32 vcc_lo, exec_lo, s11
	s_cbranch_vccnz .LBB1_7
; %bb.3:
	v_lshl_add_u32 v3, s14, 6, v10
	s_mov_b32 s1, 0
                                        ; implicit-def: $vgpr2
                                        ; implicit-def: $vgpr0_vgpr1
	s_waitcnt lgkmcnt(0)
	s_delay_alu instid0(VALU_DEP_1) | instskip(SKIP_1) | instid1(SALU_CYCLE_1)
	v_cmp_gt_i32_e32 vcc_lo, s2, v3
	s_and_b32 s4, s0, vcc_lo
	s_and_saveexec_b32 s0, s4
	s_cbranch_execz .LBB1_8
; %bb.4:
	v_ashrrev_i32_e32 v2, 31, v3
	v_mul_lo_u32 v4, v3, s29
	v_mad_u64_u32 v[0:1], null, v3, s28, 0
	v_cmp_eq_f32_e64 s4, s8, 0
	s_delay_alu instid0(VALU_DEP_4) | instskip(NEXT) | instid1(VALU_DEP_2)
	v_mul_lo_u32 v2, v2, s28
	s_and_b32 vcc_lo, exec_lo, s4
	s_delay_alu instid0(VALU_DEP_1)
	v_add3_u32 v1, v1, v4, v2
	v_mov_b32_e32 v2, 0
	s_cbranch_vccnz .LBB1_6
; %bb.5:
	s_delay_alu instid0(VALU_DEP_2) | instskip(NEXT) | instid1(VALU_DEP_1)
	v_lshlrev_b64 v[2:3], 2, v[0:1]
	v_add_co_u32 v2, vcc_lo, s6, v2
	s_delay_alu instid0(VALU_DEP_2)
	v_add_co_ci_u32_e32 v3, vcc_lo, s7, v3, vcc_lo
	global_load_b32 v2, v[2:3], off
	s_waitcnt vmcnt(0)
	v_mul_f32_e32 v2, s8, v2
.LBB1_6:
	s_mov_b32 s9, exec_lo
	s_or_b32 exec_lo, exec_lo, s0
	s_delay_alu instid0(SALU_CYCLE_1)
	s_and_b32 vcc_lo, exec_lo, s1
	s_cbranch_vccnz .LBB1_9
	s_branch .LBB1_30
.LBB1_7:
                                        ; implicit-def: $vgpr2
                                        ; implicit-def: $vgpr0_vgpr1
	s_cbranch_execnz .LBB1_9
	s_branch .LBB1_30
.LBB1_8:
	s_or_b32 exec_lo, exec_lo, s0
	s_delay_alu instid0(SALU_CYCLE_1)
	s_and_b32 vcc_lo, exec_lo, s1
	s_cbranch_vccz .LBB1_30
.LBB1_9:
	v_lshrrev_b32_e32 v0, 6, v10
	v_mov_b32_e32 v12, 0
	s_lshl_b32 s11, s14, 6
	s_mov_b32 s12, exec_lo
	s_waitcnt lgkmcnt(0)
	v_cmpx_gt_i32_e64 s2, v0
	s_cbranch_execz .LBB1_25
; %bb.10:
	s_mul_i32 s1, s15, s47
	s_mul_hi_u32 s4, s15, s46
	s_mul_i32 s0, s15, s46
	s_add_i32 s1, s4, s1
	v_and_b32_e32 v7, 63, v10
	s_lshl_b64 s[4:5], s[0:1], 2
	s_mul_hi_u32 s13, s15, s18
	s_add_u32 s0, s40, s4
	s_addc_u32 s1, s41, s5
	s_lshl_b64 s[20:21], s[42:43], 2
	v_or_b32_e32 v11, s11, v7
	s_add_u32 s22, s0, s20
	s_mul_i32 s0, s15, s19
	s_addc_u32 s19, s1, s21
	s_add_i32 s1, s13, s0
	s_mul_i32 s0, s15, s18
	v_mad_u64_u32 v[4:5], null, s44, v0, 0
	s_lshl_b64 s[0:1], s[0:1], 2
	v_mul_lo_u32 v6, v11, s45
	s_add_u32 s13, s48, s0
	v_mad_u64_u32 v[1:2], null, v11, s44, 0
	s_addc_u32 s14, s49, s1
	s_lshl_b64 s[0:1], s[50:51], 2
	s_delay_alu instid0(VALU_DEP_3)
	v_mov_b32_e32 v3, v5
	s_add_u32 s13, s13, s0
	s_addc_u32 s14, s14, s1
	s_ashr_i32 s0, s11, 31
	v_cmp_gt_i32_e32 vcc_lo, s2, v11
	s_mul_i32 s0, s0, s44
	s_mov_b32 s15, 0
	v_add3_u32 v2, v2, v6, s0
	v_mad_u64_u32 v[5:6], null, s45, v0, v[3:4]
	v_mov_b32_e32 v3, 0
	s_delay_alu instid0(VALU_DEP_3) | instskip(NEXT) | instid1(VALU_DEP_2)
	v_lshlrev_b64 v[1:2], 2, v[1:2]
	v_mov_b32_e32 v12, v3
	s_delay_alu instid0(VALU_DEP_4) | instskip(NEXT) | instid1(VALU_DEP_3)
	v_lshlrev_b64 v[4:5], 2, v[4:5]
	v_add_co_u32 v13, s0, s22, v1
	s_delay_alu instid0(VALU_DEP_1)
	v_add_co_ci_u32_e64 v14, s0, s19, v2, s0
	s_add_u32 s0, s40, s20
	v_mov_b32_e32 v1, v3
	s_addc_u32 s1, s41, s21
	s_add_u32 s0, s0, s4
	s_addc_u32 s1, s1, s5
	v_add_co_u32 v16, s0, s0, v4
	s_delay_alu instid0(VALU_DEP_1) | instskip(SKIP_3) | instid1(VALU_DEP_1)
	v_add_co_ci_u32_e64 v17, s0, s1, v5, s0
	v_dual_mov_b32 v5, v1 :: v_dual_mov_b32 v4, v0
	v_add_nc_u32_e32 v6, s11, v7
	s_lshl_b64 s[4:5], s[44:45], 6
	v_sub_nc_u32_e32 v15, 0, v6
	v_sub_nc_u32_e32 v2, v6, v0
	s_branch .LBB1_13
.LBB1_11:                               ;   in Loop: Header=BB1_13 Depth=1
	s_or_b32 exec_lo, exec_lo, s1
.LBB1_12:                               ;   in Loop: Header=BB1_13 Depth=1
	s_delay_alu instid0(SALU_CYCLE_1) | instskip(SKIP_1) | instid1(VALU_DEP_1)
	s_or_b32 exec_lo, exec_lo, s18
	v_add_co_u32 v4, s0, v4, 16
	v_add_co_ci_u32_e64 v5, s0, 0, v5, s0
	v_add_co_u32 v16, s1, v16, s4
	s_delay_alu instid0(VALU_DEP_3) | instskip(SKIP_3) | instid1(VALU_DEP_4)
	v_cmp_le_i32_e64 s0, s2, v4
	v_add_nc_u32_e32 v0, 16, v0
	v_add_co_ci_u32_e64 v17, s1, s5, v17, s1
	v_add_nc_u32_e32 v2, -16, v2
	s_or_b32 s15, s0, s15
	s_delay_alu instid0(SALU_CYCLE_1)
	s_and_not1_b32 exec_lo, exec_lo, s15
	s_cbranch_execz .LBB1_24
.LBB1_13:                               ; =>This Inner Loop Header: Depth=1
	s_and_saveexec_b32 s18, vcc_lo
	s_cbranch_execz .LBB1_12
; %bb.14:                               ;   in Loop: Header=BB1_13 Depth=1
	s_mov_b32 s19, 0
                                        ; implicit-def: $vgpr6_vgpr7
                                        ; implicit-def: $vgpr8_vgpr9
	s_mov_b32 s1, exec_lo
	v_cmpx_le_i32_e64 v4, v11
	s_xor_b32 s20, exec_lo, s1
	s_cbranch_execnz .LBB1_17
; %bb.15:                               ;   in Loop: Header=BB1_13 Depth=1
	s_and_not1_saveexec_b32 s20, s20
	s_cbranch_execnz .LBB1_20
.LBB1_16:                               ;   in Loop: Header=BB1_13 Depth=1
	s_or_b32 exec_lo, exec_lo, s20
	s_and_saveexec_b32 s1, s19
	s_cbranch_execz .LBB1_11
	s_branch .LBB1_23
.LBB1_17:                               ;   in Loop: Header=BB1_13 Depth=1
	v_cmp_ge_i32_e64 s0, s3, v2
	v_cmp_lt_i32_e64 s1, -1, v2
                                        ; implicit-def: $vgpr6_vgpr7
                                        ; implicit-def: $vgpr8_vgpr9
	s_delay_alu instid0(VALU_DEP_1)
	s_and_b32 s0, s0, s1
	s_mov_b32 s1, 0
	s_and_saveexec_b32 s19, s0
; %bb.18:                               ;   in Loop: Header=BB1_13 Depth=1
	v_lshlrev_b64 v[6:7], 2, v[2:3]
	v_mov_b32_e32 v1, v3
	s_mov_b32 s1, exec_lo
	s_delay_alu instid0(VALU_DEP_1) | instskip(NEXT) | instid1(VALU_DEP_3)
	v_dual_mov_b32 v9, v1 :: v_dual_mov_b32 v8, v0
	v_add_co_u32 v6, s0, v16, v6
	s_delay_alu instid0(VALU_DEP_1)
	v_add_co_ci_u32_e64 v7, s0, v17, v7, s0
; %bb.19:                               ;   in Loop: Header=BB1_13 Depth=1
	s_or_b32 exec_lo, exec_lo, s19
	s_delay_alu instid0(SALU_CYCLE_1)
	s_and_b32 s19, s1, exec_lo
	s_and_not1_saveexec_b32 s20, s20
	s_cbranch_execz .LBB1_16
.LBB1_20:                               ;   in Loop: Header=BB1_13 Depth=1
	v_add_nc_u32_e32 v8, v15, v4
                                        ; implicit-def: $vgpr6_vgpr7
	s_delay_alu instid0(VALU_DEP_1) | instskip(SKIP_1) | instid1(VALU_DEP_1)
	v_cmp_ge_i32_e64 s0, s3, v8
	v_cmp_lt_i32_e64 s1, -1, v8
	s_and_b32 s21, s0, s1
	s_mov_b32 s0, s19
	s_and_saveexec_b32 s1, s21
; %bb.21:                               ;   in Loop: Header=BB1_13 Depth=1
	v_mov_b32_e32 v9, v3
	s_delay_alu instid0(VALU_DEP_1) | instskip(NEXT) | instid1(VALU_DEP_1)
	v_lshlrev_b64 v[6:7], 2, v[8:9]
	v_add_co_u32 v6, s0, v13, v6
	s_delay_alu instid0(VALU_DEP_1)
	v_add_co_ci_u32_e64 v7, s0, v14, v7, s0
	s_or_b32 s0, s19, exec_lo
; %bb.22:                               ;   in Loop: Header=BB1_13 Depth=1
	s_or_b32 exec_lo, exec_lo, s1
	v_dual_mov_b32 v9, v5 :: v_dual_mov_b32 v8, v4
	s_and_not1_b32 s1, s19, exec_lo
	s_and_b32 s0, s0, exec_lo
	s_delay_alu instid0(SALU_CYCLE_1)
	s_or_b32 s19, s1, s0
	s_or_b32 exec_lo, exec_lo, s20
	s_and_saveexec_b32 s1, s19
	s_cbranch_execz .LBB1_11
.LBB1_23:                               ;   in Loop: Header=BB1_13 Depth=1
	v_mul_lo_u32 v1, v9, s16
	v_mul_lo_u32 v9, v8, s17
	v_mad_u64_u32 v[18:19], null, v8, s16, 0
	s_delay_alu instid0(VALU_DEP_1) | instskip(NEXT) | instid1(VALU_DEP_1)
	v_add3_u32 v19, v19, v9, v1
	v_lshlrev_b64 v[8:9], 2, v[18:19]
	s_delay_alu instid0(VALU_DEP_1) | instskip(NEXT) | instid1(VALU_DEP_1)
	v_add_co_u32 v8, s0, s13, v8
	v_add_co_ci_u32_e64 v9, s0, s14, v9, s0
	global_load_b32 v1, v[6:7], off
	global_load_b32 v6, v[8:9], off
	s_waitcnt vmcnt(0)
	v_fmac_f32_e32 v12, v1, v6
	s_branch .LBB1_11
.LBB1_24:
	s_or_b32 exec_lo, exec_lo, s15
.LBB1_25:
	s_delay_alu instid0(SALU_CYCLE_1) | instskip(SKIP_3) | instid1(VALU_DEP_3)
	s_or_b32 exec_lo, exec_lo, s12
	v_add_nc_u32_e32 v4, s11, v10
	v_cmp_gt_u32_e32 vcc_lo, 64, v10
	v_lshlrev_b32_e32 v3, 2, v10
                                        ; implicit-def: $vgpr2
                                        ; implicit-def: $vgpr0_vgpr1
	v_cmp_gt_i32_e64 s0, s2, v4
	ds_store_b32 v3, v12
	s_waitcnt lgkmcnt(0)
	s_barrier
	s_and_b32 s1, vcc_lo, s0
	buffer_gl0_inv
	s_and_saveexec_b32 s0, s1
	s_cbranch_execz .LBB1_29
; %bb.26:
	ds_load_2addr_stride64_b32 v[0:1], v3 offset1:1
	ds_load_2addr_stride64_b32 v[5:6], v3 offset0:2 offset1:3
	ds_load_2addr_stride64_b32 v[7:8], v3 offset0:4 offset1:5
	;; [unrolled: 1-line block ×3, first 2 shown]
	v_cmp_eq_f32_e64 s1, s8, 0
	s_delay_alu instid0(VALU_DEP_1) | instskip(SKIP_3) | instid1(VALU_DEP_1)
	s_and_b32 vcc_lo, exec_lo, s1
	s_waitcnt lgkmcnt(3)
	v_add_f32_e32 v0, v0, v1
	s_waitcnt lgkmcnt(2)
	v_add_f32_e32 v0, v5, v0
	s_delay_alu instid0(VALU_DEP_1)
	v_add_f32_e32 v0, v6, v0
	ds_load_2addr_stride64_b32 v[5:6], v3 offset0:10 offset1:11
	s_waitcnt lgkmcnt(2)
	v_add_f32_e32 v2, v7, v0
	ds_load_2addr_stride64_b32 v[0:1], v3 offset0:8 offset1:9
	v_add_f32_e32 v2, v8, v2
	s_waitcnt lgkmcnt(2)
	s_delay_alu instid0(VALU_DEP_1) | instskip(NEXT) | instid1(VALU_DEP_1)
	v_add_f32_e32 v2, v9, v2
	v_add_f32_e32 v2, v10, v2
	ds_load_2addr_stride64_b32 v[7:8], v3 offset0:12 offset1:13
	ds_load_2addr_stride64_b32 v[9:10], v3 offset0:14 offset1:15
	s_waitcnt lgkmcnt(2)
	v_add_f32_e32 v0, v0, v2
	s_delay_alu instid0(VALU_DEP_1) | instskip(NEXT) | instid1(VALU_DEP_1)
	v_add_f32_e32 v0, v1, v0
	v_add_f32_e32 v0, v5, v0
	v_ashrrev_i32_e32 v5, 31, v4
	s_delay_alu instid0(VALU_DEP_2) | instskip(SKIP_2) | instid1(VALU_DEP_2)
	v_add_f32_e32 v0, v6, v0
	v_mul_lo_u32 v6, v4, s29
	s_waitcnt lgkmcnt(1)
	v_add_f32_e32 v0, v7, v0
	s_delay_alu instid0(VALU_DEP_1) | instskip(SKIP_3) | instid1(VALU_DEP_3)
	v_add_f32_e32 v2, v8, v0
	v_mad_u64_u32 v[0:1], null, v4, s28, 0
	v_mul_lo_u32 v4, v5, s28
	s_waitcnt lgkmcnt(0)
	v_add_f32_e32 v2, v9, v2
	s_delay_alu instid0(VALU_DEP_1) | instskip(NEXT) | instid1(VALU_DEP_3)
	v_add_f32_e32 v5, v10, v2
	v_add3_u32 v1, v1, v6, v4
	s_delay_alu instid0(VALU_DEP_2)
	v_mul_f32_e32 v2, s10, v5
	ds_store_b32 v3, v5
	s_cbranch_vccnz .LBB1_28
; %bb.27:
	v_lshlrev_b64 v[3:4], 2, v[0:1]
	s_delay_alu instid0(VALU_DEP_1) | instskip(NEXT) | instid1(VALU_DEP_2)
	v_add_co_u32 v3, vcc_lo, s6, v3
	v_add_co_ci_u32_e32 v4, vcc_lo, s7, v4, vcc_lo
	global_load_b32 v3, v[3:4], off
	s_waitcnt vmcnt(0)
	v_fmac_f32_e32 v2, s8, v3
.LBB1_28:
	s_or_b32 s9, s9, exec_lo
.LBB1_29:
	s_or_b32 exec_lo, exec_lo, s0
.LBB1_30:
	s_and_saveexec_b32 s0, s9
	s_cbranch_execz .LBB1_32
; %bb.31:
	v_lshlrev_b64 v[0:1], 2, v[0:1]
	s_delay_alu instid0(VALU_DEP_1) | instskip(NEXT) | instid1(VALU_DEP_2)
	v_add_co_u32 v0, vcc_lo, s6, v0
	v_add_co_ci_u32_e32 v1, vcc_lo, s7, v1, vcc_lo
	global_store_b32 v[0:1], v2, off
.LBB1_32:
	s_nop 0
	s_sendmsg sendmsg(MSG_DEALLOC_VGPRS)
	s_endpgm
	.section	.rodata,"a",@progbits
	.p2align	6, 0x0
	.amdhsa_kernel _ZL19rocblas_sbmv_kernelILb0ELi64ELi16EPKfS1_PfEviiT2_lT3_lllS4_lllS3_lT4_llli
		.amdhsa_group_segment_fixed_size 4096
		.amdhsa_private_segment_fixed_size 0
		.amdhsa_kernarg_size 400
		.amdhsa_user_sgpr_count 14
		.amdhsa_user_sgpr_dispatch_ptr 0
		.amdhsa_user_sgpr_queue_ptr 0
		.amdhsa_user_sgpr_kernarg_segment_ptr 1
		.amdhsa_user_sgpr_dispatch_id 0
		.amdhsa_user_sgpr_private_segment_size 0
		.amdhsa_wavefront_size32 1
		.amdhsa_uses_dynamic_stack 0
		.amdhsa_enable_private_segment 0
		.amdhsa_system_sgpr_workgroup_id_x 1
		.amdhsa_system_sgpr_workgroup_id_y 0
		.amdhsa_system_sgpr_workgroup_id_z 1
		.amdhsa_system_sgpr_workgroup_info 0
		.amdhsa_system_vgpr_workitem_id 1
		.amdhsa_next_free_vgpr 20
		.amdhsa_next_free_sgpr 52
		.amdhsa_reserve_vcc 1
		.amdhsa_float_round_mode_32 0
		.amdhsa_float_round_mode_16_64 0
		.amdhsa_float_denorm_mode_32 3
		.amdhsa_float_denorm_mode_16_64 3
		.amdhsa_dx10_clamp 1
		.amdhsa_ieee_mode 1
		.amdhsa_fp16_overflow 0
		.amdhsa_workgroup_processor_mode 1
		.amdhsa_memory_ordered 1
		.amdhsa_forward_progress 0
		.amdhsa_shared_vgpr_count 0
		.amdhsa_exception_fp_ieee_invalid_op 0
		.amdhsa_exception_fp_denorm_src 0
		.amdhsa_exception_fp_ieee_div_zero 0
		.amdhsa_exception_fp_ieee_overflow 0
		.amdhsa_exception_fp_ieee_underflow 0
		.amdhsa_exception_fp_ieee_inexact 0
		.amdhsa_exception_int_div_zero 0
	.end_amdhsa_kernel
	.section	.text._ZL19rocblas_sbmv_kernelILb0ELi64ELi16EPKfS1_PfEviiT2_lT3_lllS4_lllS3_lT4_llli,"axG",@progbits,_ZL19rocblas_sbmv_kernelILb0ELi64ELi16EPKfS1_PfEviiT2_lT3_lllS4_lllS3_lT4_llli,comdat
.Lfunc_end1:
	.size	_ZL19rocblas_sbmv_kernelILb0ELi64ELi16EPKfS1_PfEviiT2_lT3_lllS4_lllS3_lT4_llli, .Lfunc_end1-_ZL19rocblas_sbmv_kernelILb0ELi64ELi16EPKfS1_PfEviiT2_lT3_lllS4_lllS3_lT4_llli
                                        ; -- End function
	.section	.AMDGPU.csdata,"",@progbits
; Kernel info:
; codeLenInByte = 1648
; NumSgprs: 54
; NumVgprs: 20
; ScratchSize: 0
; MemoryBound: 0
; FloatMode: 240
; IeeeMode: 1
; LDSByteSize: 4096 bytes/workgroup (compile time only)
; SGPRBlocks: 6
; VGPRBlocks: 2
; NumSGPRsForWavesPerEU: 54
; NumVGPRsForWavesPerEU: 20
; Occupancy: 16
; WaveLimiterHint : 0
; COMPUTE_PGM_RSRC2:SCRATCH_EN: 0
; COMPUTE_PGM_RSRC2:USER_SGPR: 14
; COMPUTE_PGM_RSRC2:TRAP_HANDLER: 0
; COMPUTE_PGM_RSRC2:TGID_X_EN: 1
; COMPUTE_PGM_RSRC2:TGID_Y_EN: 0
; COMPUTE_PGM_RSRC2:TGID_Z_EN: 1
; COMPUTE_PGM_RSRC2:TIDIG_COMP_CNT: 1
	.section	.text._ZL19rocblas_sbmv_kernelILb1ELi64ELi16EfPKfPfEviiT2_lT3_lllS4_lllS3_lT4_llli,"axG",@progbits,_ZL19rocblas_sbmv_kernelILb1ELi64ELi16EfPKfPfEviiT2_lT3_lllS4_lllS3_lT4_llli,comdat
	.globl	_ZL19rocblas_sbmv_kernelILb1ELi64ELi16EfPKfPfEviiT2_lT3_lllS4_lllS3_lT4_llli ; -- Begin function _ZL19rocblas_sbmv_kernelILb1ELi64ELi16EfPKfPfEviiT2_lT3_lllS4_lllS3_lT4_llli
	.p2align	8
	.type	_ZL19rocblas_sbmv_kernelILb1ELi64ELi16EfPKfPfEviiT2_lT3_lllS4_lllS3_lT4_llli,@function
_ZL19rocblas_sbmv_kernelILb1ELi64ELi16EfPKfPfEviiT2_lT3_lllS4_lllS3_lT4_llli: ; @_ZL19rocblas_sbmv_kernelILb1ELi64ELi16EfPKfPfEviiT2_lT3_lllS4_lllS3_lT4_llli
; %bb.0:
	s_load_b64 s[2:3], s[0:1], 0x9c
	s_waitcnt lgkmcnt(0)
	s_lshr_b32 s4, s2, 16
	s_and_b32 s2, s2, 0xffff
	s_and_b32 s3, s3, 0xffff
	s_mul_i32 s4, s4, s2
	s_delay_alu instid0(SALU_CYCLE_1) | instskip(NEXT) | instid1(SALU_CYCLE_1)
	s_mul_i32 s4, s4, s3
	s_cmpk_lg_i32 s4, 0x400
	s_cbranch_scc1 .LBB2_32
; %bb.1:
	s_clause 0x1
	s_load_b128 s[36:39], s[0:1], 0x0
	s_load_b32 s12, s[0:1], 0x58
	s_mov_b32 s13, 0
	s_waitcnt lgkmcnt(0)
	v_cmp_eq_f32_e64 s3, s38, 0
	v_cmp_eq_f32_e64 s4, s12, 1.0
	s_delay_alu instid0(VALU_DEP_1) | instskip(NEXT) | instid1(SALU_CYCLE_1)
	s_and_b32 s3, s3, s4
	s_and_b32 vcc_lo, exec_lo, s3
	s_cbranch_vccnz .LBB2_32
; %bb.2:
	s_load_b256 s[4:11], s[0:1], 0x68
	v_and_b32_e32 v1, 0x3ff, v0
	v_bfe_u32 v0, v0, 10, 10
	v_cmp_neq_f32_e64 s16, s38, 0
	s_delay_alu instid0(VALU_DEP_2)
	v_mad_u32_u24 v10, v0, s2, v1
	s_waitcnt lgkmcnt(0)
	s_mul_i32 s3, s15, s11
	s_mul_hi_u32 s11, s15, s10
	s_mul_i32 s10, s15, s10
	s_add_i32 s11, s11, s3
	s_delay_alu instid0(SALU_CYCLE_1) | instskip(NEXT) | instid1(SALU_CYCLE_1)
	s_lshl_b64 s[10:11], s[10:11], 2
	s_add_u32 s4, s4, s10
	s_addc_u32 s5, s5, s11
	s_lshl_b64 s[2:3], s[6:7], 2
	s_delay_alu instid0(SALU_CYCLE_1)
	s_add_u32 s4, s4, s2
	v_cmp_gt_u32_e64 s2, 64, v10
	s_addc_u32 s5, s5, s3
	s_and_b32 vcc_lo, exec_lo, s16
	s_cbranch_vccnz .LBB2_7
; %bb.3:
	v_lshl_add_u32 v3, s14, 6, v10
	s_mov_b32 s3, 0
                                        ; implicit-def: $vgpr2
                                        ; implicit-def: $vgpr0_vgpr1
	s_delay_alu instid0(VALU_DEP_1) | instskip(SKIP_1) | instid1(SALU_CYCLE_1)
	v_cmp_gt_i32_e32 vcc_lo, s36, v3
	s_and_b32 s6, s2, vcc_lo
	s_and_saveexec_b32 s2, s6
	s_cbranch_execz .LBB2_8
; %bb.4:
	v_ashrrev_i32_e32 v2, 31, v3
	v_mul_lo_u32 v4, v3, s9
	v_mad_u64_u32 v[0:1], null, v3, s8, 0
	v_cmp_eq_f32_e64 s6, s12, 0
	s_delay_alu instid0(VALU_DEP_4) | instskip(NEXT) | instid1(VALU_DEP_2)
	v_mul_lo_u32 v2, v2, s8
	s_and_b32 vcc_lo, exec_lo, s6
	s_delay_alu instid0(VALU_DEP_1)
	v_add3_u32 v1, v1, v4, v2
	v_mov_b32_e32 v2, 0
	s_cbranch_vccnz .LBB2_6
; %bb.5:
	s_delay_alu instid0(VALU_DEP_2) | instskip(NEXT) | instid1(VALU_DEP_1)
	v_lshlrev_b64 v[2:3], 2, v[0:1]
	v_add_co_u32 v2, vcc_lo, s4, v2
	s_delay_alu instid0(VALU_DEP_2)
	v_add_co_ci_u32_e32 v3, vcc_lo, s5, v3, vcc_lo
	global_load_b32 v2, v[2:3], off
	s_waitcnt vmcnt(0)
	v_mul_f32_e32 v2, s12, v2
.LBB2_6:
	s_mov_b32 s13, exec_lo
	s_or_b32 exec_lo, exec_lo, s2
	s_delay_alu instid0(SALU_CYCLE_1)
	s_and_b32 vcc_lo, exec_lo, s3
	s_cbranch_vccnz .LBB2_9
	s_branch .LBB2_30
.LBB2_7:
                                        ; implicit-def: $vgpr2
                                        ; implicit-def: $vgpr0_vgpr1
	s_cbranch_execnz .LBB2_9
	s_branch .LBB2_30
.LBB2_8:
	s_or_b32 exec_lo, exec_lo, s2
	s_delay_alu instid0(SALU_CYCLE_1)
	s_and_b32 vcc_lo, exec_lo, s3
	s_cbranch_vccz .LBB2_30
.LBB2_9:
	v_lshrrev_b32_e32 v0, 6, v10
	v_mov_b32_e32 v12, 0
	s_lshl_b32 s6, s14, 6
	s_mov_b32 s7, exec_lo
	s_delay_alu instid0(VALU_DEP_2)
	v_cmpx_gt_i32_e64 s36, v0
	s_cbranch_execz .LBB2_25
; %bb.10:
	s_load_b512 s[16:31], s[0:1], 0x18
	v_dual_mov_b32 v3, 0 :: v_dual_and_b32 v12, 63, v10
	s_delay_alu instid0(VALU_DEP_1) | instskip(NEXT) | instid1(VALU_DEP_1)
	v_or_b32_e32 v11, s6, v12
	v_cmp_gt_i32_e32 vcc_lo, s36, v11
	s_waitcnt lgkmcnt(0)
	s_mul_i32 s1, s15, s23
	s_mul_hi_u32 s2, s15, s22
	s_mul_i32 s0, s15, s22
	s_add_i32 s1, s2, s1
	v_mad_u64_u32 v[4:5], null, s20, v0, 0
	s_lshl_b64 s[0:1], s[0:1], 2
	s_mul_i32 s3, s15, s31
	s_add_u32 s11, s16, s0
	s_mul_hi_u32 s10, s15, s30
	s_mul_i32 s2, s15, s30
	s_addc_u32 s22, s17, s1
	s_lshl_b64 s[14:15], s[18:19], 2
	v_dual_mov_b32 v1, v3 :: v_dual_mov_b32 v2, v5
	s_add_u32 s18, s11, s14
	s_addc_u32 s19, s22, s15
	s_add_i32 s3, s10, s3
	v_mul_lo_u32 v13, v11, s21
	s_lshl_b64 s[2:3], s[2:3], 2
	v_mad_u64_u32 v[6:7], null, v11, s20, 0
	s_add_u32 s10, s24, s2
	s_addc_u32 s11, s25, s3
	s_lshl_b64 s[2:3], s[26:27], 2
	v_mad_u64_u32 v[8:9], null, s21, v0, v[2:3]
	s_add_u32 s10, s10, s2
	s_addc_u32 s11, s11, s3
	s_ashr_i32 s2, s6, 31
	v_sub_nc_u32_e32 v2, s37, v12
	s_mul_i32 s2, s2, s20
	v_add3_u32 v9, s37, s6, v12
	v_add3_u32 v7, v7, v13, s2
	v_dual_mov_b32 v5, v8 :: v_dual_mov_b32 v12, v3
	s_add_u32 s2, s16, s14
	s_addc_u32 s3, s17, s15
	s_delay_alu instid0(VALU_DEP_2) | instskip(NEXT) | instid1(VALU_DEP_2)
	v_lshlrev_b64 v[6:7], 2, v[6:7]
	v_lshlrev_b64 v[4:5], 2, v[4:5]
	s_add_u32 s2, s2, s0
	s_addc_u32 s1, s3, s1
	v_subrev_nc_u32_e32 v13, s6, v2
	v_sub_nc_u32_e32 v2, v9, v0
	v_add_co_u32 v14, s0, s18, v6
	s_delay_alu instid0(VALU_DEP_1) | instskip(SKIP_1) | instid1(VALU_DEP_1)
	v_add_co_ci_u32_e64 v15, s0, s19, v7, s0
	v_add_co_u32 v16, s0, s2, v4
	v_add_co_ci_u32_e64 v17, s0, s1, v5, s0
	v_dual_mov_b32 v5, v1 :: v_dual_mov_b32 v4, v0
	s_mov_b32 s14, 0
	s_lshl_b64 s[2:3], s[20:21], 6
	s_branch .LBB2_13
.LBB2_11:                               ;   in Loop: Header=BB2_13 Depth=1
	s_or_b32 exec_lo, exec_lo, s1
.LBB2_12:                               ;   in Loop: Header=BB2_13 Depth=1
	s_delay_alu instid0(SALU_CYCLE_1) | instskip(SKIP_1) | instid1(VALU_DEP_1)
	s_or_b32 exec_lo, exec_lo, s15
	v_add_co_u32 v4, s0, v4, 16
	v_add_co_ci_u32_e64 v5, s0, 0, v5, s0
	v_add_co_u32 v16, s1, v16, s2
	s_delay_alu instid0(VALU_DEP_3) | instskip(SKIP_3) | instid1(VALU_DEP_4)
	v_cmp_le_i32_e64 s0, s36, v4
	v_add_nc_u32_e32 v0, 16, v0
	v_add_co_ci_u32_e64 v17, s1, s3, v17, s1
	v_add_nc_u32_e32 v2, -16, v2
	s_or_b32 s14, s0, s14
	s_delay_alu instid0(SALU_CYCLE_1)
	s_and_not1_b32 exec_lo, exec_lo, s14
	s_cbranch_execz .LBB2_24
.LBB2_13:                               ; =>This Inner Loop Header: Depth=1
	s_and_saveexec_b32 s15, vcc_lo
	s_cbranch_execz .LBB2_12
; %bb.14:                               ;   in Loop: Header=BB2_13 Depth=1
	s_mov_b32 s16, 0
                                        ; implicit-def: $vgpr6_vgpr7
                                        ; implicit-def: $vgpr8_vgpr9
	s_mov_b32 s1, exec_lo
	v_cmpx_ge_i32_e64 v4, v11
	s_xor_b32 s17, exec_lo, s1
	s_cbranch_execnz .LBB2_17
; %bb.15:                               ;   in Loop: Header=BB2_13 Depth=1
	s_and_not1_saveexec_b32 s17, s17
	s_cbranch_execnz .LBB2_20
.LBB2_16:                               ;   in Loop: Header=BB2_13 Depth=1
	s_or_b32 exec_lo, exec_lo, s17
	s_and_saveexec_b32 s1, s16
	s_cbranch_execz .LBB2_11
	s_branch .LBB2_23
.LBB2_17:                               ;   in Loop: Header=BB2_13 Depth=1
	v_cmp_ge_i32_e64 s0, s37, v2
	v_cmp_lt_i32_e64 s1, -1, v2
                                        ; implicit-def: $vgpr6_vgpr7
                                        ; implicit-def: $vgpr8_vgpr9
	s_delay_alu instid0(VALU_DEP_1) | instskip(SKIP_2) | instid1(SALU_CYCLE_1)
	s_and_b32 s0, s0, s1
	s_mov_b32 s1, 0
	s_and_saveexec_b32 s16, s0
	s_xor_b32 s16, exec_lo, s16
; %bb.18:                               ;   in Loop: Header=BB2_13 Depth=1
	v_lshlrev_b64 v[6:7], 2, v[2:3]
	v_mov_b32_e32 v1, v3
	s_mov_b32 s1, exec_lo
	s_delay_alu instid0(VALU_DEP_1) | instskip(NEXT) | instid1(VALU_DEP_3)
	v_dual_mov_b32 v9, v1 :: v_dual_mov_b32 v8, v0
	v_add_co_u32 v6, s0, v16, v6
	s_delay_alu instid0(VALU_DEP_1)
	v_add_co_ci_u32_e64 v7, s0, v17, v7, s0
; %bb.19:                               ;   in Loop: Header=BB2_13 Depth=1
	s_or_b32 exec_lo, exec_lo, s16
	s_delay_alu instid0(SALU_CYCLE_1)
	s_and_b32 s16, s1, exec_lo
	s_and_not1_saveexec_b32 s17, s17
	s_cbranch_execz .LBB2_16
.LBB2_20:                               ;   in Loop: Header=BB2_13 Depth=1
	v_add_nc_u32_e32 v8, v13, v4
                                        ; implicit-def: $vgpr6_vgpr7
	s_delay_alu instid0(VALU_DEP_1) | instskip(SKIP_1) | instid1(VALU_DEP_1)
	v_cmp_ge_i32_e64 s0, s37, v8
	v_cmp_lt_i32_e64 s1, -1, v8
	s_and_b32 s18, s0, s1
	s_mov_b32 s0, s16
	s_and_saveexec_b32 s1, s18
; %bb.21:                               ;   in Loop: Header=BB2_13 Depth=1
	v_mov_b32_e32 v9, v3
	s_delay_alu instid0(VALU_DEP_1) | instskip(NEXT) | instid1(VALU_DEP_1)
	v_lshlrev_b64 v[6:7], 2, v[8:9]
	v_add_co_u32 v6, s0, v14, v6
	s_delay_alu instid0(VALU_DEP_1)
	v_add_co_ci_u32_e64 v7, s0, v15, v7, s0
	s_or_b32 s0, s16, exec_lo
; %bb.22:                               ;   in Loop: Header=BB2_13 Depth=1
	s_or_b32 exec_lo, exec_lo, s1
	v_dual_mov_b32 v9, v5 :: v_dual_mov_b32 v8, v4
	s_and_not1_b32 s1, s16, exec_lo
	s_and_b32 s0, s0, exec_lo
	s_delay_alu instid0(SALU_CYCLE_1)
	s_or_b32 s16, s1, s0
	s_or_b32 exec_lo, exec_lo, s17
	s_and_saveexec_b32 s1, s16
	s_cbranch_execz .LBB2_11
.LBB2_23:                               ;   in Loop: Header=BB2_13 Depth=1
	v_mul_lo_u32 v1, v9, s28
	v_mul_lo_u32 v9, v8, s29
	v_mad_u64_u32 v[18:19], null, v8, s28, 0
	s_delay_alu instid0(VALU_DEP_1) | instskip(NEXT) | instid1(VALU_DEP_1)
	v_add3_u32 v19, v19, v9, v1
	v_lshlrev_b64 v[8:9], 2, v[18:19]
	s_delay_alu instid0(VALU_DEP_1) | instskip(NEXT) | instid1(VALU_DEP_1)
	v_add_co_u32 v8, s0, s10, v8
	v_add_co_ci_u32_e64 v9, s0, s11, v9, s0
	global_load_b32 v1, v[6:7], off
	global_load_b32 v6, v[8:9], off
	s_waitcnt vmcnt(0)
	v_fmac_f32_e32 v12, v1, v6
	s_branch .LBB2_11
.LBB2_24:
	s_or_b32 exec_lo, exec_lo, s14
.LBB2_25:
	s_delay_alu instid0(SALU_CYCLE_1) | instskip(SKIP_3) | instid1(VALU_DEP_3)
	s_or_b32 exec_lo, exec_lo, s7
	v_add_nc_u32_e32 v4, s6, v10
	v_cmp_gt_u32_e32 vcc_lo, 64, v10
	v_lshlrev_b32_e32 v3, 2, v10
                                        ; implicit-def: $vgpr2
                                        ; implicit-def: $vgpr0_vgpr1
	v_cmp_gt_i32_e64 s0, s36, v4
	ds_store_b32 v3, v12
	s_waitcnt lgkmcnt(0)
	s_barrier
	s_and_b32 s1, vcc_lo, s0
	buffer_gl0_inv
	s_and_saveexec_b32 s0, s1
	s_cbranch_execz .LBB2_29
; %bb.26:
	ds_load_2addr_stride64_b32 v[0:1], v3 offset1:1
	ds_load_2addr_stride64_b32 v[5:6], v3 offset0:2 offset1:3
	ds_load_2addr_stride64_b32 v[7:8], v3 offset0:4 offset1:5
	;; [unrolled: 1-line block ×3, first 2 shown]
	v_cmp_eq_f32_e64 s1, s12, 0
	s_delay_alu instid0(VALU_DEP_1) | instskip(SKIP_3) | instid1(VALU_DEP_1)
	s_and_b32 vcc_lo, exec_lo, s1
	s_waitcnt lgkmcnt(3)
	v_add_f32_e32 v0, v0, v1
	s_waitcnt lgkmcnt(2)
	v_add_f32_e32 v0, v5, v0
	s_delay_alu instid0(VALU_DEP_1)
	v_add_f32_e32 v0, v6, v0
	ds_load_2addr_stride64_b32 v[5:6], v3 offset0:10 offset1:11
	s_waitcnt lgkmcnt(2)
	v_add_f32_e32 v2, v7, v0
	ds_load_2addr_stride64_b32 v[0:1], v3 offset0:8 offset1:9
	v_add_f32_e32 v2, v8, v2
	s_waitcnt lgkmcnt(2)
	s_delay_alu instid0(VALU_DEP_1) | instskip(NEXT) | instid1(VALU_DEP_1)
	v_add_f32_e32 v2, v9, v2
	v_add_f32_e32 v2, v10, v2
	ds_load_2addr_stride64_b32 v[7:8], v3 offset0:12 offset1:13
	ds_load_2addr_stride64_b32 v[9:10], v3 offset0:14 offset1:15
	s_waitcnt lgkmcnt(2)
	v_add_f32_e32 v0, v0, v2
	s_delay_alu instid0(VALU_DEP_1) | instskip(NEXT) | instid1(VALU_DEP_1)
	v_add_f32_e32 v0, v1, v0
	v_add_f32_e32 v0, v5, v0
	v_ashrrev_i32_e32 v5, 31, v4
	s_delay_alu instid0(VALU_DEP_2) | instskip(SKIP_2) | instid1(VALU_DEP_2)
	v_add_f32_e32 v0, v6, v0
	v_mul_lo_u32 v6, v4, s9
	s_waitcnt lgkmcnt(1)
	v_add_f32_e32 v0, v7, v0
	s_delay_alu instid0(VALU_DEP_1) | instskip(SKIP_3) | instid1(VALU_DEP_3)
	v_add_f32_e32 v2, v8, v0
	v_mad_u64_u32 v[0:1], null, v4, s8, 0
	v_mul_lo_u32 v4, v5, s8
	s_waitcnt lgkmcnt(0)
	v_add_f32_e32 v2, v9, v2
	s_delay_alu instid0(VALU_DEP_1) | instskip(NEXT) | instid1(VALU_DEP_3)
	v_add_f32_e32 v5, v10, v2
	v_add3_u32 v1, v1, v6, v4
	s_delay_alu instid0(VALU_DEP_2)
	v_mul_f32_e32 v2, s38, v5
	ds_store_b32 v3, v5
	s_cbranch_vccnz .LBB2_28
; %bb.27:
	v_lshlrev_b64 v[3:4], 2, v[0:1]
	s_delay_alu instid0(VALU_DEP_1) | instskip(NEXT) | instid1(VALU_DEP_2)
	v_add_co_u32 v3, vcc_lo, s4, v3
	v_add_co_ci_u32_e32 v4, vcc_lo, s5, v4, vcc_lo
	global_load_b32 v3, v[3:4], off
	s_waitcnt vmcnt(0)
	v_fmac_f32_e32 v2, s12, v3
.LBB2_28:
	s_or_b32 s13, s13, exec_lo
.LBB2_29:
	s_or_b32 exec_lo, exec_lo, s0
.LBB2_30:
	s_and_saveexec_b32 s0, s13
	s_cbranch_execz .LBB2_32
; %bb.31:
	v_lshlrev_b64 v[0:1], 2, v[0:1]
	s_delay_alu instid0(VALU_DEP_1) | instskip(NEXT) | instid1(VALU_DEP_2)
	v_add_co_u32 v0, vcc_lo, s4, v0
	v_add_co_ci_u32_e32 v1, vcc_lo, s5, v1, vcc_lo
	global_store_b32 v[0:1], v2, off
.LBB2_32:
	s_nop 0
	s_sendmsg sendmsg(MSG_DEALLOC_VGPRS)
	s_endpgm
	.section	.rodata,"a",@progbits
	.p2align	6, 0x0
	.amdhsa_kernel _ZL19rocblas_sbmv_kernelILb1ELi64ELi16EfPKfPfEviiT2_lT3_lllS4_lllS3_lT4_llli
		.amdhsa_group_segment_fixed_size 4096
		.amdhsa_private_segment_fixed_size 0
		.amdhsa_kernarg_size 400
		.amdhsa_user_sgpr_count 14
		.amdhsa_user_sgpr_dispatch_ptr 0
		.amdhsa_user_sgpr_queue_ptr 0
		.amdhsa_user_sgpr_kernarg_segment_ptr 1
		.amdhsa_user_sgpr_dispatch_id 0
		.amdhsa_user_sgpr_private_segment_size 0
		.amdhsa_wavefront_size32 1
		.amdhsa_uses_dynamic_stack 0
		.amdhsa_enable_private_segment 0
		.amdhsa_system_sgpr_workgroup_id_x 1
		.amdhsa_system_sgpr_workgroup_id_y 0
		.amdhsa_system_sgpr_workgroup_id_z 1
		.amdhsa_system_sgpr_workgroup_info 0
		.amdhsa_system_vgpr_workitem_id 1
		.amdhsa_next_free_vgpr 20
		.amdhsa_next_free_sgpr 40
		.amdhsa_reserve_vcc 1
		.amdhsa_float_round_mode_32 0
		.amdhsa_float_round_mode_16_64 0
		.amdhsa_float_denorm_mode_32 3
		.amdhsa_float_denorm_mode_16_64 3
		.amdhsa_dx10_clamp 1
		.amdhsa_ieee_mode 1
		.amdhsa_fp16_overflow 0
		.amdhsa_workgroup_processor_mode 1
		.amdhsa_memory_ordered 1
		.amdhsa_forward_progress 0
		.amdhsa_shared_vgpr_count 0
		.amdhsa_exception_fp_ieee_invalid_op 0
		.amdhsa_exception_fp_denorm_src 0
		.amdhsa_exception_fp_ieee_div_zero 0
		.amdhsa_exception_fp_ieee_overflow 0
		.amdhsa_exception_fp_ieee_underflow 0
		.amdhsa_exception_fp_ieee_inexact 0
		.amdhsa_exception_int_div_zero 0
	.end_amdhsa_kernel
	.section	.text._ZL19rocblas_sbmv_kernelILb1ELi64ELi16EfPKfPfEviiT2_lT3_lllS4_lllS3_lT4_llli,"axG",@progbits,_ZL19rocblas_sbmv_kernelILb1ELi64ELi16EfPKfPfEviiT2_lT3_lllS4_lllS3_lT4_llli,comdat
.Lfunc_end2:
	.size	_ZL19rocblas_sbmv_kernelILb1ELi64ELi16EfPKfPfEviiT2_lT3_lllS4_lllS3_lT4_llli, .Lfunc_end2-_ZL19rocblas_sbmv_kernelILb1ELi64ELi16EfPKfPfEviiT2_lT3_lllS4_lllS3_lT4_llli
                                        ; -- End function
	.section	.AMDGPU.csdata,"",@progbits
; Kernel info:
; codeLenInByte = 1596
; NumSgprs: 42
; NumVgprs: 20
; ScratchSize: 0
; MemoryBound: 0
; FloatMode: 240
; IeeeMode: 1
; LDSByteSize: 4096 bytes/workgroup (compile time only)
; SGPRBlocks: 5
; VGPRBlocks: 2
; NumSGPRsForWavesPerEU: 42
; NumVGPRsForWavesPerEU: 20
; Occupancy: 16
; WaveLimiterHint : 1
; COMPUTE_PGM_RSRC2:SCRATCH_EN: 0
; COMPUTE_PGM_RSRC2:USER_SGPR: 14
; COMPUTE_PGM_RSRC2:TRAP_HANDLER: 0
; COMPUTE_PGM_RSRC2:TGID_X_EN: 1
; COMPUTE_PGM_RSRC2:TGID_Y_EN: 0
; COMPUTE_PGM_RSRC2:TGID_Z_EN: 1
; COMPUTE_PGM_RSRC2:TIDIG_COMP_CNT: 1
	.section	.text._ZL19rocblas_sbmv_kernelILb0ELi64ELi16EfPKfPfEviiT2_lT3_lllS4_lllS3_lT4_llli,"axG",@progbits,_ZL19rocblas_sbmv_kernelILb0ELi64ELi16EfPKfPfEviiT2_lT3_lllS4_lllS3_lT4_llli,comdat
	.globl	_ZL19rocblas_sbmv_kernelILb0ELi64ELi16EfPKfPfEviiT2_lT3_lllS4_lllS3_lT4_llli ; -- Begin function _ZL19rocblas_sbmv_kernelILb0ELi64ELi16EfPKfPfEviiT2_lT3_lllS4_lllS3_lT4_llli
	.p2align	8
	.type	_ZL19rocblas_sbmv_kernelILb0ELi64ELi16EfPKfPfEviiT2_lT3_lllS4_lllS3_lT4_llli,@function
_ZL19rocblas_sbmv_kernelILb0ELi64ELi16EfPKfPfEviiT2_lT3_lllS4_lllS3_lT4_llli: ; @_ZL19rocblas_sbmv_kernelILb0ELi64ELi16EfPKfPfEviiT2_lT3_lllS4_lllS3_lT4_llli
; %bb.0:
	s_load_b64 s[2:3], s[0:1], 0x9c
	s_waitcnt lgkmcnt(0)
	s_lshr_b32 s4, s2, 16
	s_and_b32 s2, s2, 0xffff
	s_and_b32 s3, s3, 0xffff
	s_mul_i32 s4, s4, s2
	s_delay_alu instid0(SALU_CYCLE_1) | instskip(NEXT) | instid1(SALU_CYCLE_1)
	s_mul_i32 s4, s4, s3
	s_cmpk_lg_i32 s4, 0x400
	s_cbranch_scc1 .LBB3_32
; %bb.1:
	s_clause 0x1
	s_load_b128 s[36:39], s[0:1], 0x0
	s_load_b32 s12, s[0:1], 0x58
	s_mov_b32 s13, 0
	s_waitcnt lgkmcnt(0)
	v_cmp_eq_f32_e64 s3, s38, 0
	v_cmp_eq_f32_e64 s4, s12, 1.0
	s_delay_alu instid0(VALU_DEP_1) | instskip(NEXT) | instid1(SALU_CYCLE_1)
	s_and_b32 s3, s3, s4
	s_and_b32 vcc_lo, exec_lo, s3
	s_cbranch_vccnz .LBB3_32
; %bb.2:
	s_load_b256 s[4:11], s[0:1], 0x68
	v_and_b32_e32 v1, 0x3ff, v0
	v_bfe_u32 v0, v0, 10, 10
	v_cmp_neq_f32_e64 s16, s38, 0
	s_delay_alu instid0(VALU_DEP_2)
	v_mad_u32_u24 v10, v0, s2, v1
	s_waitcnt lgkmcnt(0)
	s_mul_i32 s3, s15, s11
	s_mul_hi_u32 s11, s15, s10
	s_mul_i32 s10, s15, s10
	s_add_i32 s11, s11, s3
	s_delay_alu instid0(SALU_CYCLE_1) | instskip(NEXT) | instid1(SALU_CYCLE_1)
	s_lshl_b64 s[10:11], s[10:11], 2
	s_add_u32 s4, s4, s10
	s_addc_u32 s5, s5, s11
	s_lshl_b64 s[2:3], s[6:7], 2
	s_delay_alu instid0(SALU_CYCLE_1)
	s_add_u32 s4, s4, s2
	v_cmp_gt_u32_e64 s2, 64, v10
	s_addc_u32 s5, s5, s3
	s_and_b32 vcc_lo, exec_lo, s16
	s_cbranch_vccnz .LBB3_7
; %bb.3:
	v_lshl_add_u32 v3, s14, 6, v10
	s_mov_b32 s3, 0
                                        ; implicit-def: $vgpr2
                                        ; implicit-def: $vgpr0_vgpr1
	s_delay_alu instid0(VALU_DEP_1) | instskip(SKIP_1) | instid1(SALU_CYCLE_1)
	v_cmp_gt_i32_e32 vcc_lo, s36, v3
	s_and_b32 s6, s2, vcc_lo
	s_and_saveexec_b32 s2, s6
	s_cbranch_execz .LBB3_8
; %bb.4:
	v_ashrrev_i32_e32 v2, 31, v3
	v_mul_lo_u32 v4, v3, s9
	v_mad_u64_u32 v[0:1], null, v3, s8, 0
	v_cmp_eq_f32_e64 s6, s12, 0
	s_delay_alu instid0(VALU_DEP_4) | instskip(NEXT) | instid1(VALU_DEP_2)
	v_mul_lo_u32 v2, v2, s8
	s_and_b32 vcc_lo, exec_lo, s6
	s_delay_alu instid0(VALU_DEP_1)
	v_add3_u32 v1, v1, v4, v2
	v_mov_b32_e32 v2, 0
	s_cbranch_vccnz .LBB3_6
; %bb.5:
	s_delay_alu instid0(VALU_DEP_2) | instskip(NEXT) | instid1(VALU_DEP_1)
	v_lshlrev_b64 v[2:3], 2, v[0:1]
	v_add_co_u32 v2, vcc_lo, s4, v2
	s_delay_alu instid0(VALU_DEP_2)
	v_add_co_ci_u32_e32 v3, vcc_lo, s5, v3, vcc_lo
	global_load_b32 v2, v[2:3], off
	s_waitcnt vmcnt(0)
	v_mul_f32_e32 v2, s12, v2
.LBB3_6:
	s_mov_b32 s13, exec_lo
	s_or_b32 exec_lo, exec_lo, s2
	s_delay_alu instid0(SALU_CYCLE_1)
	s_and_b32 vcc_lo, exec_lo, s3
	s_cbranch_vccnz .LBB3_9
	s_branch .LBB3_30
.LBB3_7:
                                        ; implicit-def: $vgpr2
                                        ; implicit-def: $vgpr0_vgpr1
	s_cbranch_execnz .LBB3_9
	s_branch .LBB3_30
.LBB3_8:
	s_or_b32 exec_lo, exec_lo, s2
	s_delay_alu instid0(SALU_CYCLE_1)
	s_and_b32 vcc_lo, exec_lo, s3
	s_cbranch_vccz .LBB3_30
.LBB3_9:
	v_lshrrev_b32_e32 v0, 6, v10
	v_mov_b32_e32 v12, 0
	s_lshl_b32 s6, s14, 6
	s_mov_b32 s7, exec_lo
	s_delay_alu instid0(VALU_DEP_2)
	v_cmpx_gt_i32_e64 s36, v0
	s_cbranch_execz .LBB3_25
; %bb.10:
	s_load_b512 s[16:31], s[0:1], 0x18
	v_dual_mov_b32 v3, 0 :: v_dual_and_b32 v2, 63, v10
	s_delay_alu instid0(VALU_DEP_1) | instskip(NEXT) | instid1(VALU_DEP_2)
	v_or_b32_e32 v11, s6, v2
	v_dual_mov_b32 v1, v3 :: v_dual_add_nc_u32 v8, s6, v2
	v_mov_b32_e32 v12, v3
	s_delay_alu instid0(VALU_DEP_3) | instskip(NEXT) | instid1(VALU_DEP_3)
	v_cmp_gt_i32_e32 vcc_lo, s36, v11
	v_sub_nc_u32_e32 v13, 0, v8
	s_waitcnt lgkmcnt(0)
	s_mul_i32 s1, s15, s23
	s_mul_hi_u32 s2, s15, s22
	v_mad_u64_u32 v[4:5], null, s20, v0, 0
	s_mul_i32 s0, s15, s22
	s_add_i32 s1, s2, s1
	s_mul_i32 s3, s15, s31
	s_lshl_b64 s[0:1], s[0:1], 2
	s_mul_hi_u32 s10, s15, s30
	s_add_u32 s11, s16, s0
	s_mul_i32 s2, s15, s30
	s_addc_u32 s22, s17, s1
	s_lshl_b64 s[14:15], s[18:19], 2
	v_mov_b32_e32 v2, v5
	s_add_u32 s18, s11, s14
	s_addc_u32 s19, s22, s15
	s_add_i32 s3, s10, s3
	v_mul_lo_u32 v9, v11, s21
	s_lshl_b64 s[2:3], s[2:3], 2
	v_mad_u64_u32 v[5:6], null, s21, v0, v[2:3]
	s_add_u32 s10, s24, s2
	v_mad_u64_u32 v[6:7], null, v11, s20, 0
	s_addc_u32 s11, s25, s3
	s_lshl_b64 s[2:3], s[26:27], 2
	v_sub_nc_u32_e32 v2, v8, v0
	s_add_u32 s10, s10, s2
	s_addc_u32 s11, s11, s3
	s_ashr_i32 s2, s6, 31
	v_lshlrev_b64 v[4:5], 2, v[4:5]
	s_mul_i32 s2, s2, s20
	s_add_u32 s3, s16, s14
	v_add3_u32 v7, v7, v9, s2
	s_addc_u32 s2, s17, s15
	s_add_u32 s0, s3, s0
	s_addc_u32 s1, s2, s1
	v_add_co_u32 v14, s0, s0, v4
	v_lshlrev_b64 v[6:7], 2, v[6:7]
	v_add_co_ci_u32_e64 v15, s0, s1, v5, s0
	v_dual_mov_b32 v5, v1 :: v_dual_mov_b32 v4, v0
	s_mov_b32 s14, 0
	s_delay_alu instid0(VALU_DEP_3) | instskip(NEXT) | instid1(VALU_DEP_1)
	v_add_co_u32 v16, s0, s18, v6
	v_add_co_ci_u32_e64 v17, s0, s19, v7, s0
	s_lshl_b64 s[2:3], s[20:21], 6
	s_branch .LBB3_13
.LBB3_11:                               ;   in Loop: Header=BB3_13 Depth=1
	s_or_b32 exec_lo, exec_lo, s1
.LBB3_12:                               ;   in Loop: Header=BB3_13 Depth=1
	s_delay_alu instid0(SALU_CYCLE_1) | instskip(SKIP_1) | instid1(VALU_DEP_1)
	s_or_b32 exec_lo, exec_lo, s15
	v_add_co_u32 v4, s0, v4, 16
	v_add_co_ci_u32_e64 v5, s0, 0, v5, s0
	v_add_co_u32 v14, s1, v14, s2
	s_delay_alu instid0(VALU_DEP_3) | instskip(SKIP_3) | instid1(VALU_DEP_4)
	v_cmp_le_i32_e64 s0, s36, v4
	v_add_nc_u32_e32 v0, 16, v0
	v_add_co_ci_u32_e64 v15, s1, s3, v15, s1
	v_add_nc_u32_e32 v2, -16, v2
	s_or_b32 s14, s0, s14
	s_delay_alu instid0(SALU_CYCLE_1)
	s_and_not1_b32 exec_lo, exec_lo, s14
	s_cbranch_execz .LBB3_24
.LBB3_13:                               ; =>This Inner Loop Header: Depth=1
	s_and_saveexec_b32 s15, vcc_lo
	s_cbranch_execz .LBB3_12
; %bb.14:                               ;   in Loop: Header=BB3_13 Depth=1
	s_mov_b32 s16, 0
                                        ; implicit-def: $vgpr6_vgpr7
                                        ; implicit-def: $vgpr8_vgpr9
	s_mov_b32 s1, exec_lo
	v_cmpx_le_i32_e64 v4, v11
	s_xor_b32 s17, exec_lo, s1
	s_cbranch_execnz .LBB3_17
; %bb.15:                               ;   in Loop: Header=BB3_13 Depth=1
	s_and_not1_saveexec_b32 s17, s17
	s_cbranch_execnz .LBB3_20
.LBB3_16:                               ;   in Loop: Header=BB3_13 Depth=1
	s_or_b32 exec_lo, exec_lo, s17
	s_and_saveexec_b32 s1, s16
	s_cbranch_execz .LBB3_11
	s_branch .LBB3_23
.LBB3_17:                               ;   in Loop: Header=BB3_13 Depth=1
	v_cmp_ge_i32_e64 s0, s37, v2
	v_cmp_lt_i32_e64 s1, -1, v2
                                        ; implicit-def: $vgpr6_vgpr7
                                        ; implicit-def: $vgpr8_vgpr9
	s_delay_alu instid0(VALU_DEP_1)
	s_and_b32 s0, s0, s1
	s_mov_b32 s1, 0
	s_and_saveexec_b32 s16, s0
; %bb.18:                               ;   in Loop: Header=BB3_13 Depth=1
	v_lshlrev_b64 v[6:7], 2, v[2:3]
	v_mov_b32_e32 v1, v3
	s_mov_b32 s1, exec_lo
	s_delay_alu instid0(VALU_DEP_1) | instskip(NEXT) | instid1(VALU_DEP_3)
	v_dual_mov_b32 v9, v1 :: v_dual_mov_b32 v8, v0
	v_add_co_u32 v6, s0, v14, v6
	s_delay_alu instid0(VALU_DEP_1)
	v_add_co_ci_u32_e64 v7, s0, v15, v7, s0
; %bb.19:                               ;   in Loop: Header=BB3_13 Depth=1
	s_or_b32 exec_lo, exec_lo, s16
	s_delay_alu instid0(SALU_CYCLE_1)
	s_and_b32 s16, s1, exec_lo
	s_and_not1_saveexec_b32 s17, s17
	s_cbranch_execz .LBB3_16
.LBB3_20:                               ;   in Loop: Header=BB3_13 Depth=1
	v_add_nc_u32_e32 v8, v13, v4
                                        ; implicit-def: $vgpr6_vgpr7
	s_delay_alu instid0(VALU_DEP_1) | instskip(SKIP_1) | instid1(VALU_DEP_1)
	v_cmp_ge_i32_e64 s0, s37, v8
	v_cmp_lt_i32_e64 s1, -1, v8
	s_and_b32 s18, s0, s1
	s_mov_b32 s0, s16
	s_and_saveexec_b32 s1, s18
; %bb.21:                               ;   in Loop: Header=BB3_13 Depth=1
	v_mov_b32_e32 v9, v3
	s_delay_alu instid0(VALU_DEP_1) | instskip(NEXT) | instid1(VALU_DEP_1)
	v_lshlrev_b64 v[6:7], 2, v[8:9]
	v_add_co_u32 v6, s0, v16, v6
	s_delay_alu instid0(VALU_DEP_1)
	v_add_co_ci_u32_e64 v7, s0, v17, v7, s0
	s_or_b32 s0, s16, exec_lo
; %bb.22:                               ;   in Loop: Header=BB3_13 Depth=1
	s_or_b32 exec_lo, exec_lo, s1
	v_dual_mov_b32 v9, v5 :: v_dual_mov_b32 v8, v4
	s_and_not1_b32 s1, s16, exec_lo
	s_and_b32 s0, s0, exec_lo
	s_delay_alu instid0(SALU_CYCLE_1)
	s_or_b32 s16, s1, s0
	s_or_b32 exec_lo, exec_lo, s17
	s_and_saveexec_b32 s1, s16
	s_cbranch_execz .LBB3_11
.LBB3_23:                               ;   in Loop: Header=BB3_13 Depth=1
	v_mul_lo_u32 v1, v9, s28
	v_mul_lo_u32 v9, v8, s29
	v_mad_u64_u32 v[18:19], null, v8, s28, 0
	s_delay_alu instid0(VALU_DEP_1) | instskip(NEXT) | instid1(VALU_DEP_1)
	v_add3_u32 v19, v19, v9, v1
	v_lshlrev_b64 v[8:9], 2, v[18:19]
	s_delay_alu instid0(VALU_DEP_1) | instskip(NEXT) | instid1(VALU_DEP_1)
	v_add_co_u32 v8, s0, s10, v8
	v_add_co_ci_u32_e64 v9, s0, s11, v9, s0
	global_load_b32 v1, v[6:7], off
	global_load_b32 v6, v[8:9], off
	s_waitcnt vmcnt(0)
	v_fmac_f32_e32 v12, v1, v6
	s_branch .LBB3_11
.LBB3_24:
	s_or_b32 exec_lo, exec_lo, s14
.LBB3_25:
	s_delay_alu instid0(SALU_CYCLE_1) | instskip(SKIP_3) | instid1(VALU_DEP_3)
	s_or_b32 exec_lo, exec_lo, s7
	v_add_nc_u32_e32 v4, s6, v10
	v_cmp_gt_u32_e32 vcc_lo, 64, v10
	v_lshlrev_b32_e32 v3, 2, v10
                                        ; implicit-def: $vgpr2
                                        ; implicit-def: $vgpr0_vgpr1
	v_cmp_gt_i32_e64 s0, s36, v4
	ds_store_b32 v3, v12
	s_waitcnt lgkmcnt(0)
	s_barrier
	s_and_b32 s1, vcc_lo, s0
	buffer_gl0_inv
	s_and_saveexec_b32 s0, s1
	s_cbranch_execz .LBB3_29
; %bb.26:
	ds_load_2addr_stride64_b32 v[0:1], v3 offset1:1
	ds_load_2addr_stride64_b32 v[5:6], v3 offset0:2 offset1:3
	ds_load_2addr_stride64_b32 v[7:8], v3 offset0:4 offset1:5
	;; [unrolled: 1-line block ×3, first 2 shown]
	v_cmp_eq_f32_e64 s1, s12, 0
	s_delay_alu instid0(VALU_DEP_1) | instskip(SKIP_3) | instid1(VALU_DEP_1)
	s_and_b32 vcc_lo, exec_lo, s1
	s_waitcnt lgkmcnt(3)
	v_add_f32_e32 v0, v0, v1
	s_waitcnt lgkmcnt(2)
	v_add_f32_e32 v0, v5, v0
	s_delay_alu instid0(VALU_DEP_1)
	v_add_f32_e32 v0, v6, v0
	ds_load_2addr_stride64_b32 v[5:6], v3 offset0:10 offset1:11
	s_waitcnt lgkmcnt(2)
	v_add_f32_e32 v2, v7, v0
	ds_load_2addr_stride64_b32 v[0:1], v3 offset0:8 offset1:9
	v_add_f32_e32 v2, v8, v2
	s_waitcnt lgkmcnt(2)
	s_delay_alu instid0(VALU_DEP_1) | instskip(NEXT) | instid1(VALU_DEP_1)
	v_add_f32_e32 v2, v9, v2
	v_add_f32_e32 v2, v10, v2
	ds_load_2addr_stride64_b32 v[7:8], v3 offset0:12 offset1:13
	ds_load_2addr_stride64_b32 v[9:10], v3 offset0:14 offset1:15
	s_waitcnt lgkmcnt(2)
	v_add_f32_e32 v0, v0, v2
	s_delay_alu instid0(VALU_DEP_1) | instskip(NEXT) | instid1(VALU_DEP_1)
	v_add_f32_e32 v0, v1, v0
	v_add_f32_e32 v0, v5, v0
	v_ashrrev_i32_e32 v5, 31, v4
	s_delay_alu instid0(VALU_DEP_2) | instskip(SKIP_2) | instid1(VALU_DEP_2)
	v_add_f32_e32 v0, v6, v0
	v_mul_lo_u32 v6, v4, s9
	s_waitcnt lgkmcnt(1)
	v_add_f32_e32 v0, v7, v0
	s_delay_alu instid0(VALU_DEP_1) | instskip(SKIP_3) | instid1(VALU_DEP_3)
	v_add_f32_e32 v2, v8, v0
	v_mad_u64_u32 v[0:1], null, v4, s8, 0
	v_mul_lo_u32 v4, v5, s8
	s_waitcnt lgkmcnt(0)
	v_add_f32_e32 v2, v9, v2
	s_delay_alu instid0(VALU_DEP_1) | instskip(NEXT) | instid1(VALU_DEP_3)
	v_add_f32_e32 v5, v10, v2
	v_add3_u32 v1, v1, v6, v4
	s_delay_alu instid0(VALU_DEP_2)
	v_mul_f32_e32 v2, s38, v5
	ds_store_b32 v3, v5
	s_cbranch_vccnz .LBB3_28
; %bb.27:
	v_lshlrev_b64 v[3:4], 2, v[0:1]
	s_delay_alu instid0(VALU_DEP_1) | instskip(NEXT) | instid1(VALU_DEP_2)
	v_add_co_u32 v3, vcc_lo, s4, v3
	v_add_co_ci_u32_e32 v4, vcc_lo, s5, v4, vcc_lo
	global_load_b32 v3, v[3:4], off
	s_waitcnt vmcnt(0)
	v_fmac_f32_e32 v2, s12, v3
.LBB3_28:
	s_or_b32 s13, s13, exec_lo
.LBB3_29:
	s_or_b32 exec_lo, exec_lo, s0
.LBB3_30:
	s_and_saveexec_b32 s0, s13
	s_cbranch_execz .LBB3_32
; %bb.31:
	v_lshlrev_b64 v[0:1], 2, v[0:1]
	s_delay_alu instid0(VALU_DEP_1) | instskip(NEXT) | instid1(VALU_DEP_2)
	v_add_co_u32 v0, vcc_lo, s4, v0
	v_add_co_ci_u32_e32 v1, vcc_lo, s5, v1, vcc_lo
	global_store_b32 v[0:1], v2, off
.LBB3_32:
	s_nop 0
	s_sendmsg sendmsg(MSG_DEALLOC_VGPRS)
	s_endpgm
	.section	.rodata,"a",@progbits
	.p2align	6, 0x0
	.amdhsa_kernel _ZL19rocblas_sbmv_kernelILb0ELi64ELi16EfPKfPfEviiT2_lT3_lllS4_lllS3_lT4_llli
		.amdhsa_group_segment_fixed_size 4096
		.amdhsa_private_segment_fixed_size 0
		.amdhsa_kernarg_size 400
		.amdhsa_user_sgpr_count 14
		.amdhsa_user_sgpr_dispatch_ptr 0
		.amdhsa_user_sgpr_queue_ptr 0
		.amdhsa_user_sgpr_kernarg_segment_ptr 1
		.amdhsa_user_sgpr_dispatch_id 0
		.amdhsa_user_sgpr_private_segment_size 0
		.amdhsa_wavefront_size32 1
		.amdhsa_uses_dynamic_stack 0
		.amdhsa_enable_private_segment 0
		.amdhsa_system_sgpr_workgroup_id_x 1
		.amdhsa_system_sgpr_workgroup_id_y 0
		.amdhsa_system_sgpr_workgroup_id_z 1
		.amdhsa_system_sgpr_workgroup_info 0
		.amdhsa_system_vgpr_workitem_id 1
		.amdhsa_next_free_vgpr 20
		.amdhsa_next_free_sgpr 40
		.amdhsa_reserve_vcc 1
		.amdhsa_float_round_mode_32 0
		.amdhsa_float_round_mode_16_64 0
		.amdhsa_float_denorm_mode_32 3
		.amdhsa_float_denorm_mode_16_64 3
		.amdhsa_dx10_clamp 1
		.amdhsa_ieee_mode 1
		.amdhsa_fp16_overflow 0
		.amdhsa_workgroup_processor_mode 1
		.amdhsa_memory_ordered 1
		.amdhsa_forward_progress 0
		.amdhsa_shared_vgpr_count 0
		.amdhsa_exception_fp_ieee_invalid_op 0
		.amdhsa_exception_fp_denorm_src 0
		.amdhsa_exception_fp_ieee_div_zero 0
		.amdhsa_exception_fp_ieee_overflow 0
		.amdhsa_exception_fp_ieee_underflow 0
		.amdhsa_exception_fp_ieee_inexact 0
		.amdhsa_exception_int_div_zero 0
	.end_amdhsa_kernel
	.section	.text._ZL19rocblas_sbmv_kernelILb0ELi64ELi16EfPKfPfEviiT2_lT3_lllS4_lllS3_lT4_llli,"axG",@progbits,_ZL19rocblas_sbmv_kernelILb0ELi64ELi16EfPKfPfEviiT2_lT3_lllS4_lllS3_lT4_llli,comdat
.Lfunc_end3:
	.size	_ZL19rocblas_sbmv_kernelILb0ELi64ELi16EfPKfPfEviiT2_lT3_lllS4_lllS3_lT4_llli, .Lfunc_end3-_ZL19rocblas_sbmv_kernelILb0ELi64ELi16EfPKfPfEviiT2_lT3_lllS4_lllS3_lT4_llli
                                        ; -- End function
	.section	.AMDGPU.csdata,"",@progbits
; Kernel info:
; codeLenInByte = 1580
; NumSgprs: 42
; NumVgprs: 20
; ScratchSize: 0
; MemoryBound: 0
; FloatMode: 240
; IeeeMode: 1
; LDSByteSize: 4096 bytes/workgroup (compile time only)
; SGPRBlocks: 5
; VGPRBlocks: 2
; NumSGPRsForWavesPerEU: 42
; NumVGPRsForWavesPerEU: 20
; Occupancy: 16
; WaveLimiterHint : 1
; COMPUTE_PGM_RSRC2:SCRATCH_EN: 0
; COMPUTE_PGM_RSRC2:USER_SGPR: 14
; COMPUTE_PGM_RSRC2:TRAP_HANDLER: 0
; COMPUTE_PGM_RSRC2:TGID_X_EN: 1
; COMPUTE_PGM_RSRC2:TGID_Y_EN: 0
; COMPUTE_PGM_RSRC2:TGID_Z_EN: 1
; COMPUTE_PGM_RSRC2:TIDIG_COMP_CNT: 1
	.section	.text._ZL19rocblas_sbmv_kernelILb1ELi64ELi16EPKdS1_PdEviiT2_lT3_lllS4_lllS3_lT4_llli,"axG",@progbits,_ZL19rocblas_sbmv_kernelILb1ELi64ELi16EPKdS1_PdEviiT2_lT3_lllS4_lllS3_lT4_llli,comdat
	.globl	_ZL19rocblas_sbmv_kernelILb1ELi64ELi16EPKdS1_PdEviiT2_lT3_lllS4_lllS3_lT4_llli ; -- Begin function _ZL19rocblas_sbmv_kernelILb1ELi64ELi16EPKdS1_PdEviiT2_lT3_lllS4_lllS3_lT4_llli
	.p2align	8
	.type	_ZL19rocblas_sbmv_kernelILb1ELi64ELi16EPKdS1_PdEviiT2_lT3_lllS4_lllS3_lT4_llli,@function
_ZL19rocblas_sbmv_kernelILb1ELi64ELi16EPKdS1_PdEviiT2_lT3_lllS4_lllS3_lT4_llli: ; @_ZL19rocblas_sbmv_kernelILb1ELi64ELi16EPKdS1_PdEviiT2_lT3_lllS4_lllS3_lT4_llli
; %bb.0:
	s_load_b64 s[2:3], s[0:1], 0x9c
	s_waitcnt lgkmcnt(0)
	s_lshr_b32 s4, s2, 16
	s_and_b32 s8, s2, 0xffff
	s_and_b32 s2, s3, 0xffff
	s_mul_i32 s3, s4, s8
	s_delay_alu instid0(SALU_CYCLE_1) | instskip(NEXT) | instid1(SALU_CYCLE_1)
	s_mul_i32 s3, s3, s2
	s_cmpk_lg_i32 s3, 0x400
	s_cbranch_scc1 .LBB4_32
; %bb.1:
	s_clause 0x1
	s_load_b512 s[36:51], s[0:1], 0x8
	s_load_b512 s[16:31], s[0:1], 0x48
	s_waitcnt lgkmcnt(0)
	s_mul_i32 s3, s15, s39
	s_mul_hi_u32 s4, s15, s38
	s_mul_i32 s2, s15, s38
	s_add_i32 s3, s4, s3
	s_mul_i32 s4, s15, s23
	s_lshl_b64 s[2:3], s[2:3], 3
	s_mul_hi_u32 s5, s15, s22
	s_add_u32 s2, s36, s2
	s_addc_u32 s3, s37, s3
	s_add_i32 s5, s5, s4
	s_mul_i32 s4, s15, s22
	s_delay_alu instid0(SALU_CYCLE_1) | instskip(NEXT) | instid1(SALU_CYCLE_1)
	s_lshl_b64 s[4:5], s[4:5], 3
	s_add_u32 s6, s20, s4
	s_addc_u32 s7, s21, s5
	s_load_b64 s[4:5], s[2:3], 0x0
	s_load_b64 s[2:3], s[6:7], 0x0
	s_waitcnt lgkmcnt(0)
	v_cmp_eq_f64_e64 s6, s[4:5], 0
	v_cmp_eq_f64_e64 s7, s[2:3], 1.0
	s_delay_alu instid0(VALU_DEP_1) | instskip(NEXT) | instid1(SALU_CYCLE_1)
	s_and_b32 s6, s6, s7
	s_and_b32 vcc_lo, exec_lo, s6
	s_cbranch_vccnz .LBB4_32
; %bb.2:
	v_cmp_neq_f64_e64 s9, s[4:5], 0
	s_load_b64 s[6:7], s[0:1], 0x0
	v_and_b32_e32 v1, 0x3ff, v0
	v_bfe_u32 v0, v0, 10, 10
	s_mul_i32 s1, s15, s31
	s_mul_hi_u32 s10, s15, s30
	s_mul_i32 s0, s15, s30
	s_add_i32 s1, s10, s1
	v_mad_u32_u24 v12, v0, s8, v1
	s_lshl_b64 s[0:1], s[0:1], 3
	s_mov_b32 s12, 0
	s_add_u32 s8, s24, s0
	s_addc_u32 s11, s25, s1
	s_lshl_b64 s[0:1], s[26:27], 3
	s_delay_alu instid0(SALU_CYCLE_1)
	s_add_u32 s10, s8, s0
	v_cmp_gt_u32_e64 s0, 64, v12
	s_addc_u32 s11, s11, s1
	s_and_b32 vcc_lo, exec_lo, s9
	s_cbranch_vccnz .LBB4_7
; %bb.3:
	v_lshl_add_u32 v4, s14, 6, v12
	s_mov_b32 s1, 0
                                        ; implicit-def: $vgpr2_vgpr3
                                        ; implicit-def: $vgpr0_vgpr1
	s_waitcnt lgkmcnt(0)
	s_delay_alu instid0(VALU_DEP_1) | instskip(SKIP_1) | instid1(SALU_CYCLE_1)
	v_cmp_gt_i32_e32 vcc_lo, s6, v4
	s_and_b32 s8, s0, vcc_lo
	s_and_saveexec_b32 s0, s8
	s_cbranch_execz .LBB4_8
; %bb.4:
	v_cmp_eq_f64_e64 s8, s[2:3], 0
	v_ashrrev_i32_e32 v0, 31, v4
	v_mul_lo_u32 v2, v4, s29
	s_delay_alu instid0(VALU_DEP_2) | instskip(SKIP_1) | instid1(VALU_DEP_1)
	v_mul_lo_u32 v3, v0, s28
	v_mad_u64_u32 v[0:1], null, v4, s28, 0
	v_add3_u32 v1, v1, v2, v3
	v_mov_b32_e32 v2, 0
	v_mov_b32_e32 v3, 0
	s_and_b32 vcc_lo, exec_lo, s8
	s_cbranch_vccnz .LBB4_6
; %bb.5:
	s_delay_alu instid0(VALU_DEP_4) | instskip(NEXT) | instid1(VALU_DEP_1)
	v_lshlrev_b64 v[2:3], 3, v[0:1]
	v_add_co_u32 v2, vcc_lo, s10, v2
	s_delay_alu instid0(VALU_DEP_2)
	v_add_co_ci_u32_e32 v3, vcc_lo, s11, v3, vcc_lo
	global_load_b64 v[2:3], v[2:3], off
	s_waitcnt vmcnt(0)
	v_mul_f64 v[2:3], s[2:3], v[2:3]
.LBB4_6:
	s_mov_b32 s12, exec_lo
	s_or_b32 exec_lo, exec_lo, s0
	s_delay_alu instid0(SALU_CYCLE_1)
	s_and_b32 vcc_lo, exec_lo, s1
	s_cbranch_vccnz .LBB4_9
	s_branch .LBB4_30
.LBB4_7:
                                        ; implicit-def: $vgpr2_vgpr3
                                        ; implicit-def: $vgpr0_vgpr1
	s_cbranch_execnz .LBB4_9
	s_branch .LBB4_30
.LBB4_8:
	s_or_b32 exec_lo, exec_lo, s0
	s_delay_alu instid0(SALU_CYCLE_1)
	s_and_b32 vcc_lo, exec_lo, s1
	s_cbranch_vccz .LBB4_30
.LBB4_9:
	v_mov_b32_e32 v2, 0
	v_lshrrev_b32_e32 v0, 6, v12
	v_mov_b32_e32 v3, 0
	s_lshl_b32 s13, s14, 6
	s_mov_b32 s14, exec_lo
	s_waitcnt lgkmcnt(0)
	v_cmpx_gt_i32_e64 s6, v0
	s_cbranch_execz .LBB4_25
; %bb.10:
	s_mul_i32 s1, s15, s47
	s_mul_hi_u32 s8, s15, s46
	s_mul_i32 s0, s15, s46
	s_add_i32 s1, s8, s1
	v_and_b32_e32 v9, 63, v12
	s_lshl_b64 s[8:9], s[0:1], 3
	v_mad_u64_u32 v[2:3], null, s44, v0, 0
	s_add_u32 s0, s40, s8
	s_addc_u32 s1, s41, s9
	s_lshl_b64 s[20:21], s[42:43], 3
	v_or_b32_e32 v13, s13, v9
	s_add_u32 s22, s0, s20
	s_mul_i32 s0, s15, s19
	s_mul_hi_u32 s19, s15, s18
	s_addc_u32 s23, s1, s21
	s_add_i32 s1, s19, s0
	s_mul_i32 s0, s15, s18
	v_mul_lo_u32 v6, v13, s45
	s_lshl_b64 s[0:1], s[0:1], 3
	v_mad_u64_u32 v[4:5], null, v13, s44, 0
	s_add_u32 s15, s48, s0
	s_addc_u32 s18, s49, s1
	s_lshl_b64 s[0:1], s[50:51], 3
	v_mov_b32_e32 v1, v3
	s_add_u32 s15, s15, s0
	s_addc_u32 s18, s18, s1
	s_ashr_i32 s0, s13, 31
	v_cmp_gt_i32_e32 vcc_lo, s6, v13
	s_mul_i32 s0, s0, s44
	s_mov_b32 s19, 0
	v_add3_u32 v5, v5, v6, s0
	v_mad_u64_u32 v[6:7], null, s45, v0, v[1:2]
	s_delay_alu instid0(VALU_DEP_2) | instskip(SKIP_1) | instid1(VALU_DEP_3)
	v_lshlrev_b64 v[7:8], 3, v[4:5]
	v_mov_b32_e32 v5, 0
	v_mov_b32_e32 v3, v6
	s_delay_alu instid0(VALU_DEP_3) | instskip(NEXT) | instid1(VALU_DEP_1)
	v_add_co_u32 v14, s0, s22, v7
	v_add_co_ci_u32_e64 v15, s0, s23, v8, s0
	s_delay_alu instid0(VALU_DEP_3)
	v_lshlrev_b64 v[2:3], 3, v[2:3]
	s_add_u32 s0, s40, s20
	s_addc_u32 s1, s41, s21
	s_add_u32 s0, s0, s8
	s_addc_u32 s1, s1, s9
	v_mov_b32_e32 v1, v5
	v_add_co_u32 v17, s0, s0, v2
	s_delay_alu instid0(VALU_DEP_1)
	v_add_co_ci_u32_e64 v18, s0, s1, v3, s0
	v_mov_b32_e32 v2, 0
	v_sub_nc_u32_e32 v4, s7, v9
	v_dual_mov_b32 v7, v1 :: v_dual_mov_b32 v6, v0
	v_mov_b32_e32 v3, 0
	s_lshl_b64 s[8:9], s[44:45], 7
	s_delay_alu instid0(VALU_DEP_3) | instskip(SKIP_1) | instid1(VALU_DEP_1)
	v_subrev_nc_u32_e32 v16, s13, v4
	v_add3_u32 v4, s7, s13, v9
	v_sub_nc_u32_e32 v4, v4, v0
	s_branch .LBB4_13
.LBB4_11:                               ;   in Loop: Header=BB4_13 Depth=1
	s_or_b32 exec_lo, exec_lo, s1
.LBB4_12:                               ;   in Loop: Header=BB4_13 Depth=1
	s_delay_alu instid0(SALU_CYCLE_1) | instskip(SKIP_1) | instid1(VALU_DEP_1)
	s_or_b32 exec_lo, exec_lo, s20
	v_add_co_u32 v6, s0, v6, 16
	v_add_co_ci_u32_e64 v7, s0, 0, v7, s0
	v_add_co_u32 v17, s1, v17, s8
	s_delay_alu instid0(VALU_DEP_3) | instskip(SKIP_3) | instid1(VALU_DEP_4)
	v_cmp_le_i32_e64 s0, s6, v6
	v_add_nc_u32_e32 v0, 16, v0
	v_add_co_ci_u32_e64 v18, s1, s9, v18, s1
	v_add_nc_u32_e32 v4, -16, v4
	s_or_b32 s19, s0, s19
	s_delay_alu instid0(SALU_CYCLE_1)
	s_and_not1_b32 exec_lo, exec_lo, s19
	s_cbranch_execz .LBB4_24
.LBB4_13:                               ; =>This Inner Loop Header: Depth=1
	s_and_saveexec_b32 s20, vcc_lo
	s_cbranch_execz .LBB4_12
; %bb.14:                               ;   in Loop: Header=BB4_13 Depth=1
	s_mov_b32 s21, 0
                                        ; implicit-def: $vgpr8_vgpr9
                                        ; implicit-def: $vgpr10_vgpr11
	s_mov_b32 s1, exec_lo
	v_cmpx_ge_i32_e64 v6, v13
	s_xor_b32 s22, exec_lo, s1
	s_cbranch_execnz .LBB4_17
; %bb.15:                               ;   in Loop: Header=BB4_13 Depth=1
	s_and_not1_saveexec_b32 s22, s22
	s_cbranch_execnz .LBB4_20
.LBB4_16:                               ;   in Loop: Header=BB4_13 Depth=1
	s_or_b32 exec_lo, exec_lo, s22
	s_and_saveexec_b32 s1, s21
	s_cbranch_execz .LBB4_11
	s_branch .LBB4_23
.LBB4_17:                               ;   in Loop: Header=BB4_13 Depth=1
	v_cmp_ge_i32_e64 s0, s7, v4
	v_cmp_lt_i32_e64 s1, -1, v4
                                        ; implicit-def: $vgpr8_vgpr9
                                        ; implicit-def: $vgpr10_vgpr11
	s_delay_alu instid0(VALU_DEP_1) | instskip(SKIP_2) | instid1(SALU_CYCLE_1)
	s_and_b32 s0, s0, s1
	s_mov_b32 s1, 0
	s_and_saveexec_b32 s21, s0
	s_xor_b32 s21, exec_lo, s21
; %bb.18:                               ;   in Loop: Header=BB4_13 Depth=1
	v_lshlrev_b64 v[8:9], 3, v[4:5]
	v_mov_b32_e32 v1, v5
	s_mov_b32 s1, exec_lo
	s_delay_alu instid0(VALU_DEP_1) | instskip(NEXT) | instid1(VALU_DEP_3)
	v_dual_mov_b32 v11, v1 :: v_dual_mov_b32 v10, v0
	v_add_co_u32 v8, s0, v17, v8
	s_delay_alu instid0(VALU_DEP_1)
	v_add_co_ci_u32_e64 v9, s0, v18, v9, s0
; %bb.19:                               ;   in Loop: Header=BB4_13 Depth=1
	s_or_b32 exec_lo, exec_lo, s21
	s_delay_alu instid0(SALU_CYCLE_1)
	s_and_b32 s21, s1, exec_lo
	s_and_not1_saveexec_b32 s22, s22
	s_cbranch_execz .LBB4_16
.LBB4_20:                               ;   in Loop: Header=BB4_13 Depth=1
	v_add_nc_u32_e32 v10, v16, v6
                                        ; implicit-def: $vgpr8_vgpr9
	s_delay_alu instid0(VALU_DEP_1) | instskip(SKIP_1) | instid1(VALU_DEP_1)
	v_cmp_ge_i32_e64 s0, s7, v10
	v_cmp_lt_i32_e64 s1, -1, v10
	s_and_b32 s23, s0, s1
	s_mov_b32 s0, s21
	s_and_saveexec_b32 s1, s23
; %bb.21:                               ;   in Loop: Header=BB4_13 Depth=1
	v_mov_b32_e32 v11, v5
	s_delay_alu instid0(VALU_DEP_1) | instskip(NEXT) | instid1(VALU_DEP_1)
	v_lshlrev_b64 v[8:9], 3, v[10:11]
	v_add_co_u32 v8, s0, v14, v8
	s_delay_alu instid0(VALU_DEP_1)
	v_add_co_ci_u32_e64 v9, s0, v15, v9, s0
	s_or_b32 s0, s21, exec_lo
; %bb.22:                               ;   in Loop: Header=BB4_13 Depth=1
	s_or_b32 exec_lo, exec_lo, s1
	v_dual_mov_b32 v11, v7 :: v_dual_mov_b32 v10, v6
	s_and_not1_b32 s1, s21, exec_lo
	s_and_b32 s0, s0, exec_lo
	s_delay_alu instid0(SALU_CYCLE_1)
	s_or_b32 s21, s1, s0
	s_or_b32 exec_lo, exec_lo, s22
	s_and_saveexec_b32 s1, s21
	s_cbranch_execz .LBB4_11
.LBB4_23:                               ;   in Loop: Header=BB4_13 Depth=1
	v_mul_lo_u32 v1, v11, s16
	v_mul_lo_u32 v11, v10, s17
	v_mad_u64_u32 v[19:20], null, v10, s16, 0
	s_delay_alu instid0(VALU_DEP_1) | instskip(NEXT) | instid1(VALU_DEP_1)
	v_add3_u32 v20, v20, v11, v1
	v_lshlrev_b64 v[10:11], 3, v[19:20]
	s_delay_alu instid0(VALU_DEP_1) | instskip(NEXT) | instid1(VALU_DEP_1)
	v_add_co_u32 v10, s0, s15, v10
	v_add_co_ci_u32_e64 v11, s0, s18, v11, s0
	global_load_b64 v[8:9], v[8:9], off
	global_load_b64 v[10:11], v[10:11], off
	s_waitcnt vmcnt(0)
	v_fma_f64 v[2:3], v[8:9], v[10:11], v[2:3]
	s_branch .LBB4_11
.LBB4_24:
	s_or_b32 exec_lo, exec_lo, s19
.LBB4_25:
	s_delay_alu instid0(SALU_CYCLE_1) | instskip(SKIP_3) | instid1(VALU_DEP_3)
	s_or_b32 exec_lo, exec_lo, s14
	v_add_nc_u32_e32 v5, s13, v12
	v_cmp_gt_u32_e32 vcc_lo, 64, v12
	v_lshlrev_b32_e32 v4, 3, v12
                                        ; implicit-def: $vgpr0_vgpr1
	v_cmp_gt_i32_e64 s0, s6, v5
	ds_store_b64 v4, v[2:3]
	s_waitcnt lgkmcnt(0)
	s_barrier
	s_and_b32 s1, vcc_lo, s0
	buffer_gl0_inv
                                        ; implicit-def: $vgpr2_vgpr3
	s_and_saveexec_b32 s0, s1
	s_cbranch_execz .LBB4_29
; %bb.26:
	ds_load_2addr_stride64_b64 v[0:3], v4 offset1:1
	ds_load_2addr_stride64_b64 v[6:9], v4 offset0:2 offset1:3
	v_cmp_eq_f64_e64 s1, s[2:3], 0
	s_waitcnt lgkmcnt(1)
	v_add_f64 v[0:1], v[0:1], v[2:3]
	s_delay_alu instid0(VALU_DEP_2) | instskip(SKIP_1) | instid1(VALU_DEP_1)
	s_and_b32 vcc_lo, exec_lo, s1
	s_waitcnt lgkmcnt(0)
	v_add_f64 v[0:1], v[6:7], v[0:1]
	s_delay_alu instid0(VALU_DEP_1) | instskip(SKIP_4) | instid1(VALU_DEP_1)
	v_add_f64 v[10:11], v[8:9], v[0:1]
	ds_load_2addr_stride64_b64 v[0:3], v4 offset0:4 offset1:5
	ds_load_2addr_stride64_b64 v[6:9], v4 offset0:6 offset1:7
	s_waitcnt lgkmcnt(1)
	v_add_f64 v[0:1], v[0:1], v[10:11]
	v_add_f64 v[0:1], v[2:3], v[0:1]
	s_waitcnt lgkmcnt(0)
	s_delay_alu instid0(VALU_DEP_1) | instskip(NEXT) | instid1(VALU_DEP_1)
	v_add_f64 v[0:1], v[6:7], v[0:1]
	v_add_f64 v[10:11], v[8:9], v[0:1]
	ds_load_2addr_stride64_b64 v[0:3], v4 offset0:8 offset1:9
	ds_load_2addr_stride64_b64 v[6:9], v4 offset0:10 offset1:11
	s_waitcnt lgkmcnt(1)
	v_add_f64 v[0:1], v[0:1], v[10:11]
	s_delay_alu instid0(VALU_DEP_1) | instskip(SKIP_1) | instid1(VALU_DEP_1)
	v_add_f64 v[0:1], v[2:3], v[0:1]
	s_waitcnt lgkmcnt(0)
	v_add_f64 v[0:1], v[6:7], v[0:1]
	s_delay_alu instid0(VALU_DEP_1) | instskip(SKIP_4) | instid1(VALU_DEP_1)
	v_add_f64 v[10:11], v[8:9], v[0:1]
	ds_load_2addr_stride64_b64 v[0:3], v4 offset0:12 offset1:13
	ds_load_2addr_stride64_b64 v[6:9], v4 offset0:14 offset1:15
	s_waitcnt lgkmcnt(1)
	v_add_f64 v[0:1], v[0:1], v[10:11]
	v_add_f64 v[0:1], v[2:3], v[0:1]
	s_waitcnt lgkmcnt(0)
	s_delay_alu instid0(VALU_DEP_1) | instskip(NEXT) | instid1(VALU_DEP_1)
	v_add_f64 v[0:1], v[6:7], v[0:1]
	v_add_f64 v[6:7], v[8:9], v[0:1]
	v_ashrrev_i32_e32 v0, 31, v5
	v_mul_lo_u32 v8, v5, s29
	s_delay_alu instid0(VALU_DEP_2) | instskip(SKIP_1) | instid1(VALU_DEP_1)
	v_mul_lo_u32 v9, v0, s28
	v_mad_u64_u32 v[0:1], null, v5, s28, 0
	v_add3_u32 v1, v1, v8, v9
	v_mul_f64 v[2:3], s[4:5], v[6:7]
	ds_store_b64 v4, v[6:7]
	s_cbranch_vccnz .LBB4_28
; %bb.27:
	v_lshlrev_b64 v[4:5], 3, v[0:1]
	s_delay_alu instid0(VALU_DEP_1) | instskip(NEXT) | instid1(VALU_DEP_2)
	v_add_co_u32 v4, vcc_lo, s10, v4
	v_add_co_ci_u32_e32 v5, vcc_lo, s11, v5, vcc_lo
	global_load_b64 v[4:5], v[4:5], off
	s_waitcnt vmcnt(0)
	v_fma_f64 v[2:3], s[2:3], v[4:5], v[2:3]
.LBB4_28:
	s_or_b32 s12, s12, exec_lo
.LBB4_29:
	s_or_b32 exec_lo, exec_lo, s0
.LBB4_30:
	s_and_saveexec_b32 s0, s12
	s_cbranch_execz .LBB4_32
; %bb.31:
	v_lshlrev_b64 v[0:1], 3, v[0:1]
	s_delay_alu instid0(VALU_DEP_1) | instskip(NEXT) | instid1(VALU_DEP_2)
	v_add_co_u32 v0, vcc_lo, s10, v0
	v_add_co_ci_u32_e32 v1, vcc_lo, s11, v1, vcc_lo
	global_store_b64 v[0:1], v[2:3], off
.LBB4_32:
	s_nop 0
	s_sendmsg sendmsg(MSG_DEALLOC_VGPRS)
	s_endpgm
	.section	.rodata,"a",@progbits
	.p2align	6, 0x0
	.amdhsa_kernel _ZL19rocblas_sbmv_kernelILb1ELi64ELi16EPKdS1_PdEviiT2_lT3_lllS4_lllS3_lT4_llli
		.amdhsa_group_segment_fixed_size 8192
		.amdhsa_private_segment_fixed_size 0
		.amdhsa_kernarg_size 400
		.amdhsa_user_sgpr_count 14
		.amdhsa_user_sgpr_dispatch_ptr 0
		.amdhsa_user_sgpr_queue_ptr 0
		.amdhsa_user_sgpr_kernarg_segment_ptr 1
		.amdhsa_user_sgpr_dispatch_id 0
		.amdhsa_user_sgpr_private_segment_size 0
		.amdhsa_wavefront_size32 1
		.amdhsa_uses_dynamic_stack 0
		.amdhsa_enable_private_segment 0
		.amdhsa_system_sgpr_workgroup_id_x 1
		.amdhsa_system_sgpr_workgroup_id_y 0
		.amdhsa_system_sgpr_workgroup_id_z 1
		.amdhsa_system_sgpr_workgroup_info 0
		.amdhsa_system_vgpr_workitem_id 1
		.amdhsa_next_free_vgpr 21
		.amdhsa_next_free_sgpr 52
		.amdhsa_reserve_vcc 1
		.amdhsa_float_round_mode_32 0
		.amdhsa_float_round_mode_16_64 0
		.amdhsa_float_denorm_mode_32 3
		.amdhsa_float_denorm_mode_16_64 3
		.amdhsa_dx10_clamp 1
		.amdhsa_ieee_mode 1
		.amdhsa_fp16_overflow 0
		.amdhsa_workgroup_processor_mode 1
		.amdhsa_memory_ordered 1
		.amdhsa_forward_progress 0
		.amdhsa_shared_vgpr_count 0
		.amdhsa_exception_fp_ieee_invalid_op 0
		.amdhsa_exception_fp_denorm_src 0
		.amdhsa_exception_fp_ieee_div_zero 0
		.amdhsa_exception_fp_ieee_overflow 0
		.amdhsa_exception_fp_ieee_underflow 0
		.amdhsa_exception_fp_ieee_inexact 0
		.amdhsa_exception_int_div_zero 0
	.end_amdhsa_kernel
	.section	.text._ZL19rocblas_sbmv_kernelILb1ELi64ELi16EPKdS1_PdEviiT2_lT3_lllS4_lllS3_lT4_llli,"axG",@progbits,_ZL19rocblas_sbmv_kernelILb1ELi64ELi16EPKdS1_PdEviiT2_lT3_lllS4_lllS3_lT4_llli,comdat
.Lfunc_end4:
	.size	_ZL19rocblas_sbmv_kernelILb1ELi64ELi16EPKdS1_PdEviiT2_lT3_lllS4_lllS3_lT4_llli, .Lfunc_end4-_ZL19rocblas_sbmv_kernelILb1ELi64ELi16EPKdS1_PdEviiT2_lT3_lllS4_lllS3_lT4_llli
                                        ; -- End function
	.section	.AMDGPU.csdata,"",@progbits
; Kernel info:
; codeLenInByte = 1748
; NumSgprs: 54
; NumVgprs: 21
; ScratchSize: 0
; MemoryBound: 1
; FloatMode: 240
; IeeeMode: 1
; LDSByteSize: 8192 bytes/workgroup (compile time only)
; SGPRBlocks: 6
; VGPRBlocks: 2
; NumSGPRsForWavesPerEU: 54
; NumVGPRsForWavesPerEU: 21
; Occupancy: 16
; WaveLimiterHint : 0
; COMPUTE_PGM_RSRC2:SCRATCH_EN: 0
; COMPUTE_PGM_RSRC2:USER_SGPR: 14
; COMPUTE_PGM_RSRC2:TRAP_HANDLER: 0
; COMPUTE_PGM_RSRC2:TGID_X_EN: 1
; COMPUTE_PGM_RSRC2:TGID_Y_EN: 0
; COMPUTE_PGM_RSRC2:TGID_Z_EN: 1
; COMPUTE_PGM_RSRC2:TIDIG_COMP_CNT: 1
	.section	.text._ZL19rocblas_sbmv_kernelILb0ELi64ELi16EPKdS1_PdEviiT2_lT3_lllS4_lllS3_lT4_llli,"axG",@progbits,_ZL19rocblas_sbmv_kernelILb0ELi64ELi16EPKdS1_PdEviiT2_lT3_lllS4_lllS3_lT4_llli,comdat
	.globl	_ZL19rocblas_sbmv_kernelILb0ELi64ELi16EPKdS1_PdEviiT2_lT3_lllS4_lllS3_lT4_llli ; -- Begin function _ZL19rocblas_sbmv_kernelILb0ELi64ELi16EPKdS1_PdEviiT2_lT3_lllS4_lllS3_lT4_llli
	.p2align	8
	.type	_ZL19rocblas_sbmv_kernelILb0ELi64ELi16EPKdS1_PdEviiT2_lT3_lllS4_lllS3_lT4_llli,@function
_ZL19rocblas_sbmv_kernelILb0ELi64ELi16EPKdS1_PdEviiT2_lT3_lllS4_lllS3_lT4_llli: ; @_ZL19rocblas_sbmv_kernelILb0ELi64ELi16EPKdS1_PdEviiT2_lT3_lllS4_lllS3_lT4_llli
; %bb.0:
	s_load_b64 s[2:3], s[0:1], 0x9c
	s_waitcnt lgkmcnt(0)
	s_lshr_b32 s4, s2, 16
	s_and_b32 s8, s2, 0xffff
	s_and_b32 s2, s3, 0xffff
	s_mul_i32 s3, s4, s8
	s_delay_alu instid0(SALU_CYCLE_1) | instskip(NEXT) | instid1(SALU_CYCLE_1)
	s_mul_i32 s3, s3, s2
	s_cmpk_lg_i32 s3, 0x400
	s_cbranch_scc1 .LBB5_32
; %bb.1:
	s_clause 0x1
	s_load_b512 s[36:51], s[0:1], 0x8
	s_load_b512 s[16:31], s[0:1], 0x48
	s_waitcnt lgkmcnt(0)
	s_mul_i32 s3, s15, s39
	s_mul_hi_u32 s4, s15, s38
	s_mul_i32 s2, s15, s38
	s_add_i32 s3, s4, s3
	s_mul_i32 s4, s15, s23
	s_lshl_b64 s[2:3], s[2:3], 3
	s_mul_hi_u32 s5, s15, s22
	s_add_u32 s2, s36, s2
	s_addc_u32 s3, s37, s3
	s_add_i32 s5, s5, s4
	s_mul_i32 s4, s15, s22
	s_delay_alu instid0(SALU_CYCLE_1) | instskip(NEXT) | instid1(SALU_CYCLE_1)
	s_lshl_b64 s[4:5], s[4:5], 3
	s_add_u32 s6, s20, s4
	s_addc_u32 s7, s21, s5
	s_load_b64 s[4:5], s[2:3], 0x0
	s_load_b64 s[2:3], s[6:7], 0x0
	s_waitcnt lgkmcnt(0)
	v_cmp_eq_f64_e64 s6, s[4:5], 0
	v_cmp_eq_f64_e64 s7, s[2:3], 1.0
	s_delay_alu instid0(VALU_DEP_1) | instskip(NEXT) | instid1(SALU_CYCLE_1)
	s_and_b32 s6, s6, s7
	s_and_b32 vcc_lo, exec_lo, s6
	s_cbranch_vccnz .LBB5_32
; %bb.2:
	v_cmp_neq_f64_e64 s9, s[4:5], 0
	s_load_b64 s[6:7], s[0:1], 0x0
	v_and_b32_e32 v1, 0x3ff, v0
	v_bfe_u32 v0, v0, 10, 10
	s_mul_i32 s1, s15, s31
	s_mul_hi_u32 s10, s15, s30
	s_mul_i32 s0, s15, s30
	s_add_i32 s1, s10, s1
	v_mad_u32_u24 v12, v0, s8, v1
	s_lshl_b64 s[0:1], s[0:1], 3
	s_mov_b32 s12, 0
	s_add_u32 s8, s24, s0
	s_addc_u32 s11, s25, s1
	s_lshl_b64 s[0:1], s[26:27], 3
	s_delay_alu instid0(SALU_CYCLE_1)
	s_add_u32 s10, s8, s0
	v_cmp_gt_u32_e64 s0, 64, v12
	s_addc_u32 s11, s11, s1
	s_and_b32 vcc_lo, exec_lo, s9
	s_cbranch_vccnz .LBB5_7
; %bb.3:
	v_lshl_add_u32 v4, s14, 6, v12
	s_mov_b32 s1, 0
                                        ; implicit-def: $vgpr2_vgpr3
                                        ; implicit-def: $vgpr0_vgpr1
	s_waitcnt lgkmcnt(0)
	s_delay_alu instid0(VALU_DEP_1) | instskip(SKIP_1) | instid1(SALU_CYCLE_1)
	v_cmp_gt_i32_e32 vcc_lo, s6, v4
	s_and_b32 s8, s0, vcc_lo
	s_and_saveexec_b32 s0, s8
	s_cbranch_execz .LBB5_8
; %bb.4:
	v_cmp_eq_f64_e64 s8, s[2:3], 0
	v_ashrrev_i32_e32 v0, 31, v4
	v_mul_lo_u32 v2, v4, s29
	s_delay_alu instid0(VALU_DEP_2) | instskip(SKIP_1) | instid1(VALU_DEP_1)
	v_mul_lo_u32 v3, v0, s28
	v_mad_u64_u32 v[0:1], null, v4, s28, 0
	v_add3_u32 v1, v1, v2, v3
	v_mov_b32_e32 v2, 0
	v_mov_b32_e32 v3, 0
	s_and_b32 vcc_lo, exec_lo, s8
	s_cbranch_vccnz .LBB5_6
; %bb.5:
	s_delay_alu instid0(VALU_DEP_4) | instskip(NEXT) | instid1(VALU_DEP_1)
	v_lshlrev_b64 v[2:3], 3, v[0:1]
	v_add_co_u32 v2, vcc_lo, s10, v2
	s_delay_alu instid0(VALU_DEP_2)
	v_add_co_ci_u32_e32 v3, vcc_lo, s11, v3, vcc_lo
	global_load_b64 v[2:3], v[2:3], off
	s_waitcnt vmcnt(0)
	v_mul_f64 v[2:3], s[2:3], v[2:3]
.LBB5_6:
	s_mov_b32 s12, exec_lo
	s_or_b32 exec_lo, exec_lo, s0
	s_delay_alu instid0(SALU_CYCLE_1)
	s_and_b32 vcc_lo, exec_lo, s1
	s_cbranch_vccnz .LBB5_9
	s_branch .LBB5_30
.LBB5_7:
                                        ; implicit-def: $vgpr2_vgpr3
                                        ; implicit-def: $vgpr0_vgpr1
	s_cbranch_execnz .LBB5_9
	s_branch .LBB5_30
.LBB5_8:
	s_or_b32 exec_lo, exec_lo, s0
	s_delay_alu instid0(SALU_CYCLE_1)
	s_and_b32 vcc_lo, exec_lo, s1
	s_cbranch_vccz .LBB5_30
.LBB5_9:
	v_mov_b32_e32 v2, 0
	v_lshrrev_b32_e32 v0, 6, v12
	v_mov_b32_e32 v3, 0
	s_lshl_b32 s13, s14, 6
	s_mov_b32 s14, exec_lo
	s_waitcnt lgkmcnt(0)
	v_cmpx_gt_i32_e64 s6, v0
	s_cbranch_execz .LBB5_25
; %bb.10:
	s_mul_i32 s1, s15, s47
	s_mul_hi_u32 s8, s15, s46
	s_mul_i32 s0, s15, s46
	s_add_i32 s1, s8, s1
	v_and_b32_e32 v9, 63, v12
	s_lshl_b64 s[8:9], s[0:1], 3
	v_mad_u64_u32 v[2:3], null, s44, v0, 0
	s_add_u32 s0, s40, s8
	s_addc_u32 s1, s41, s9
	s_lshl_b64 s[20:21], s[42:43], 3
	v_or_b32_e32 v13, s13, v9
	s_add_u32 s22, s0, s20
	s_mul_i32 s0, s15, s19
	s_mul_hi_u32 s19, s15, s18
	s_addc_u32 s23, s1, s21
	s_add_i32 s1, s19, s0
	s_mul_i32 s0, s15, s18
	v_mul_lo_u32 v6, v13, s45
	s_lshl_b64 s[0:1], s[0:1], 3
	v_mad_u64_u32 v[4:5], null, v13, s44, 0
	s_add_u32 s15, s48, s0
	s_addc_u32 s18, s49, s1
	s_lshl_b64 s[0:1], s[50:51], 3
	v_mov_b32_e32 v1, v3
	s_add_u32 s15, s15, s0
	s_addc_u32 s18, s18, s1
	s_ashr_i32 s0, s13, 31
	v_cmp_gt_i32_e32 vcc_lo, s6, v13
	s_mul_i32 s0, s0, s44
	s_mov_b32 s19, 0
	v_add3_u32 v5, v5, v6, s0
	v_mad_u64_u32 v[6:7], null, s45, v0, v[1:2]
	s_delay_alu instid0(VALU_DEP_2) | instskip(SKIP_1) | instid1(VALU_DEP_3)
	v_lshlrev_b64 v[7:8], 3, v[4:5]
	v_mov_b32_e32 v5, 0
	v_mov_b32_e32 v3, v6
	s_delay_alu instid0(VALU_DEP_3) | instskip(NEXT) | instid1(VALU_DEP_1)
	v_add_co_u32 v14, s0, s22, v7
	v_add_co_ci_u32_e64 v15, s0, s23, v8, s0
	s_delay_alu instid0(VALU_DEP_3)
	v_lshlrev_b64 v[2:3], 3, v[2:3]
	s_add_u32 s0, s40, s20
	s_addc_u32 s1, s41, s21
	s_add_u32 s0, s0, s8
	s_addc_u32 s1, s1, s9
	v_mov_b32_e32 v1, v5
	v_add_co_u32 v17, s0, s0, v2
	s_delay_alu instid0(VALU_DEP_1) | instskip(SKIP_1) | instid1(VALU_DEP_4)
	v_add_co_ci_u32_e64 v18, s0, s1, v3, s0
	v_mov_b32_e32 v2, 0
	v_dual_mov_b32 v7, v1 :: v_dual_add_nc_u32 v4, s13, v9
	v_dual_mov_b32 v6, v0 :: v_dual_mov_b32 v3, 0
	s_lshl_b64 s[8:9], s[44:45], 7
	s_delay_alu instid0(VALU_DEP_2)
	v_sub_nc_u32_e32 v16, 0, v4
	v_sub_nc_u32_e32 v4, v4, v0
	s_branch .LBB5_13
.LBB5_11:                               ;   in Loop: Header=BB5_13 Depth=1
	s_or_b32 exec_lo, exec_lo, s1
.LBB5_12:                               ;   in Loop: Header=BB5_13 Depth=1
	s_delay_alu instid0(SALU_CYCLE_1) | instskip(SKIP_1) | instid1(VALU_DEP_1)
	s_or_b32 exec_lo, exec_lo, s20
	v_add_co_u32 v6, s0, v6, 16
	v_add_co_ci_u32_e64 v7, s0, 0, v7, s0
	v_add_co_u32 v17, s1, v17, s8
	s_delay_alu instid0(VALU_DEP_3) | instskip(SKIP_3) | instid1(VALU_DEP_4)
	v_cmp_le_i32_e64 s0, s6, v6
	v_add_nc_u32_e32 v0, 16, v0
	v_add_co_ci_u32_e64 v18, s1, s9, v18, s1
	v_add_nc_u32_e32 v4, -16, v4
	s_or_b32 s19, s0, s19
	s_delay_alu instid0(SALU_CYCLE_1)
	s_and_not1_b32 exec_lo, exec_lo, s19
	s_cbranch_execz .LBB5_24
.LBB5_13:                               ; =>This Inner Loop Header: Depth=1
	s_and_saveexec_b32 s20, vcc_lo
	s_cbranch_execz .LBB5_12
; %bb.14:                               ;   in Loop: Header=BB5_13 Depth=1
	s_mov_b32 s21, 0
                                        ; implicit-def: $vgpr8_vgpr9
                                        ; implicit-def: $vgpr10_vgpr11
	s_mov_b32 s1, exec_lo
	v_cmpx_le_i32_e64 v6, v13
	s_xor_b32 s22, exec_lo, s1
	s_cbranch_execnz .LBB5_17
; %bb.15:                               ;   in Loop: Header=BB5_13 Depth=1
	s_and_not1_saveexec_b32 s22, s22
	s_cbranch_execnz .LBB5_20
.LBB5_16:                               ;   in Loop: Header=BB5_13 Depth=1
	s_or_b32 exec_lo, exec_lo, s22
	s_and_saveexec_b32 s1, s21
	s_cbranch_execz .LBB5_11
	s_branch .LBB5_23
.LBB5_17:                               ;   in Loop: Header=BB5_13 Depth=1
	v_cmp_ge_i32_e64 s0, s7, v4
	v_cmp_lt_i32_e64 s1, -1, v4
                                        ; implicit-def: $vgpr8_vgpr9
                                        ; implicit-def: $vgpr10_vgpr11
	s_delay_alu instid0(VALU_DEP_1)
	s_and_b32 s0, s0, s1
	s_mov_b32 s1, 0
	s_and_saveexec_b32 s21, s0
; %bb.18:                               ;   in Loop: Header=BB5_13 Depth=1
	v_lshlrev_b64 v[8:9], 3, v[4:5]
	v_mov_b32_e32 v1, v5
	s_mov_b32 s1, exec_lo
	s_delay_alu instid0(VALU_DEP_1) | instskip(NEXT) | instid1(VALU_DEP_3)
	v_dual_mov_b32 v11, v1 :: v_dual_mov_b32 v10, v0
	v_add_co_u32 v8, s0, v17, v8
	s_delay_alu instid0(VALU_DEP_1)
	v_add_co_ci_u32_e64 v9, s0, v18, v9, s0
; %bb.19:                               ;   in Loop: Header=BB5_13 Depth=1
	s_or_b32 exec_lo, exec_lo, s21
	s_delay_alu instid0(SALU_CYCLE_1)
	s_and_b32 s21, s1, exec_lo
	s_and_not1_saveexec_b32 s22, s22
	s_cbranch_execz .LBB5_16
.LBB5_20:                               ;   in Loop: Header=BB5_13 Depth=1
	v_add_nc_u32_e32 v10, v16, v6
                                        ; implicit-def: $vgpr8_vgpr9
	s_delay_alu instid0(VALU_DEP_1) | instskip(SKIP_1) | instid1(VALU_DEP_1)
	v_cmp_ge_i32_e64 s0, s7, v10
	v_cmp_lt_i32_e64 s1, -1, v10
	s_and_b32 s23, s0, s1
	s_mov_b32 s0, s21
	s_and_saveexec_b32 s1, s23
; %bb.21:                               ;   in Loop: Header=BB5_13 Depth=1
	v_mov_b32_e32 v11, v5
	s_delay_alu instid0(VALU_DEP_1) | instskip(NEXT) | instid1(VALU_DEP_1)
	v_lshlrev_b64 v[8:9], 3, v[10:11]
	v_add_co_u32 v8, s0, v14, v8
	s_delay_alu instid0(VALU_DEP_1)
	v_add_co_ci_u32_e64 v9, s0, v15, v9, s0
	s_or_b32 s0, s21, exec_lo
; %bb.22:                               ;   in Loop: Header=BB5_13 Depth=1
	s_or_b32 exec_lo, exec_lo, s1
	v_dual_mov_b32 v11, v7 :: v_dual_mov_b32 v10, v6
	s_and_not1_b32 s1, s21, exec_lo
	s_and_b32 s0, s0, exec_lo
	s_delay_alu instid0(SALU_CYCLE_1)
	s_or_b32 s21, s1, s0
	s_or_b32 exec_lo, exec_lo, s22
	s_and_saveexec_b32 s1, s21
	s_cbranch_execz .LBB5_11
.LBB5_23:                               ;   in Loop: Header=BB5_13 Depth=1
	v_mul_lo_u32 v1, v11, s16
	v_mul_lo_u32 v11, v10, s17
	v_mad_u64_u32 v[19:20], null, v10, s16, 0
	s_delay_alu instid0(VALU_DEP_1) | instskip(NEXT) | instid1(VALU_DEP_1)
	v_add3_u32 v20, v20, v11, v1
	v_lshlrev_b64 v[10:11], 3, v[19:20]
	s_delay_alu instid0(VALU_DEP_1) | instskip(NEXT) | instid1(VALU_DEP_1)
	v_add_co_u32 v10, s0, s15, v10
	v_add_co_ci_u32_e64 v11, s0, s18, v11, s0
	global_load_b64 v[8:9], v[8:9], off
	global_load_b64 v[10:11], v[10:11], off
	s_waitcnt vmcnt(0)
	v_fma_f64 v[2:3], v[8:9], v[10:11], v[2:3]
	s_branch .LBB5_11
.LBB5_24:
	s_or_b32 exec_lo, exec_lo, s19
.LBB5_25:
	s_delay_alu instid0(SALU_CYCLE_1) | instskip(SKIP_3) | instid1(VALU_DEP_3)
	s_or_b32 exec_lo, exec_lo, s14
	v_add_nc_u32_e32 v5, s13, v12
	v_cmp_gt_u32_e32 vcc_lo, 64, v12
	v_lshlrev_b32_e32 v4, 3, v12
                                        ; implicit-def: $vgpr0_vgpr1
	v_cmp_gt_i32_e64 s0, s6, v5
	ds_store_b64 v4, v[2:3]
	s_waitcnt lgkmcnt(0)
	s_barrier
	s_and_b32 s1, vcc_lo, s0
	buffer_gl0_inv
                                        ; implicit-def: $vgpr2_vgpr3
	s_and_saveexec_b32 s0, s1
	s_cbranch_execz .LBB5_29
; %bb.26:
	ds_load_2addr_stride64_b64 v[0:3], v4 offset1:1
	ds_load_2addr_stride64_b64 v[6:9], v4 offset0:2 offset1:3
	v_cmp_eq_f64_e64 s1, s[2:3], 0
	s_waitcnt lgkmcnt(1)
	v_add_f64 v[0:1], v[0:1], v[2:3]
	s_delay_alu instid0(VALU_DEP_2) | instskip(SKIP_1) | instid1(VALU_DEP_1)
	s_and_b32 vcc_lo, exec_lo, s1
	s_waitcnt lgkmcnt(0)
	v_add_f64 v[0:1], v[6:7], v[0:1]
	s_delay_alu instid0(VALU_DEP_1) | instskip(SKIP_4) | instid1(VALU_DEP_1)
	v_add_f64 v[10:11], v[8:9], v[0:1]
	ds_load_2addr_stride64_b64 v[0:3], v4 offset0:4 offset1:5
	ds_load_2addr_stride64_b64 v[6:9], v4 offset0:6 offset1:7
	s_waitcnt lgkmcnt(1)
	v_add_f64 v[0:1], v[0:1], v[10:11]
	v_add_f64 v[0:1], v[2:3], v[0:1]
	s_waitcnt lgkmcnt(0)
	s_delay_alu instid0(VALU_DEP_1) | instskip(NEXT) | instid1(VALU_DEP_1)
	v_add_f64 v[0:1], v[6:7], v[0:1]
	v_add_f64 v[10:11], v[8:9], v[0:1]
	ds_load_2addr_stride64_b64 v[0:3], v4 offset0:8 offset1:9
	ds_load_2addr_stride64_b64 v[6:9], v4 offset0:10 offset1:11
	s_waitcnt lgkmcnt(1)
	v_add_f64 v[0:1], v[0:1], v[10:11]
	s_delay_alu instid0(VALU_DEP_1) | instskip(SKIP_1) | instid1(VALU_DEP_1)
	v_add_f64 v[0:1], v[2:3], v[0:1]
	s_waitcnt lgkmcnt(0)
	v_add_f64 v[0:1], v[6:7], v[0:1]
	s_delay_alu instid0(VALU_DEP_1) | instskip(SKIP_4) | instid1(VALU_DEP_1)
	v_add_f64 v[10:11], v[8:9], v[0:1]
	ds_load_2addr_stride64_b64 v[0:3], v4 offset0:12 offset1:13
	ds_load_2addr_stride64_b64 v[6:9], v4 offset0:14 offset1:15
	s_waitcnt lgkmcnt(1)
	v_add_f64 v[0:1], v[0:1], v[10:11]
	v_add_f64 v[0:1], v[2:3], v[0:1]
	s_waitcnt lgkmcnt(0)
	s_delay_alu instid0(VALU_DEP_1) | instskip(NEXT) | instid1(VALU_DEP_1)
	v_add_f64 v[0:1], v[6:7], v[0:1]
	v_add_f64 v[6:7], v[8:9], v[0:1]
	v_ashrrev_i32_e32 v0, 31, v5
	v_mul_lo_u32 v8, v5, s29
	s_delay_alu instid0(VALU_DEP_2) | instskip(SKIP_1) | instid1(VALU_DEP_1)
	v_mul_lo_u32 v9, v0, s28
	v_mad_u64_u32 v[0:1], null, v5, s28, 0
	v_add3_u32 v1, v1, v8, v9
	v_mul_f64 v[2:3], s[4:5], v[6:7]
	ds_store_b64 v4, v[6:7]
	s_cbranch_vccnz .LBB5_28
; %bb.27:
	v_lshlrev_b64 v[4:5], 3, v[0:1]
	s_delay_alu instid0(VALU_DEP_1) | instskip(NEXT) | instid1(VALU_DEP_2)
	v_add_co_u32 v4, vcc_lo, s10, v4
	v_add_co_ci_u32_e32 v5, vcc_lo, s11, v5, vcc_lo
	global_load_b64 v[4:5], v[4:5], off
	s_waitcnt vmcnt(0)
	v_fma_f64 v[2:3], s[2:3], v[4:5], v[2:3]
.LBB5_28:
	s_or_b32 s12, s12, exec_lo
.LBB5_29:
	s_or_b32 exec_lo, exec_lo, s0
.LBB5_30:
	s_and_saveexec_b32 s0, s12
	s_cbranch_execz .LBB5_32
; %bb.31:
	v_lshlrev_b64 v[0:1], 3, v[0:1]
	s_delay_alu instid0(VALU_DEP_1) | instskip(NEXT) | instid1(VALU_DEP_2)
	v_add_co_u32 v0, vcc_lo, s10, v0
	v_add_co_ci_u32_e32 v1, vcc_lo, s11, v1, vcc_lo
	global_store_b64 v[0:1], v[2:3], off
.LBB5_32:
	s_nop 0
	s_sendmsg sendmsg(MSG_DEALLOC_VGPRS)
	s_endpgm
	.section	.rodata,"a",@progbits
	.p2align	6, 0x0
	.amdhsa_kernel _ZL19rocblas_sbmv_kernelILb0ELi64ELi16EPKdS1_PdEviiT2_lT3_lllS4_lllS3_lT4_llli
		.amdhsa_group_segment_fixed_size 8192
		.amdhsa_private_segment_fixed_size 0
		.amdhsa_kernarg_size 400
		.amdhsa_user_sgpr_count 14
		.amdhsa_user_sgpr_dispatch_ptr 0
		.amdhsa_user_sgpr_queue_ptr 0
		.amdhsa_user_sgpr_kernarg_segment_ptr 1
		.amdhsa_user_sgpr_dispatch_id 0
		.amdhsa_user_sgpr_private_segment_size 0
		.amdhsa_wavefront_size32 1
		.amdhsa_uses_dynamic_stack 0
		.amdhsa_enable_private_segment 0
		.amdhsa_system_sgpr_workgroup_id_x 1
		.amdhsa_system_sgpr_workgroup_id_y 0
		.amdhsa_system_sgpr_workgroup_id_z 1
		.amdhsa_system_sgpr_workgroup_info 0
		.amdhsa_system_vgpr_workitem_id 1
		.amdhsa_next_free_vgpr 21
		.amdhsa_next_free_sgpr 52
		.amdhsa_reserve_vcc 1
		.amdhsa_float_round_mode_32 0
		.amdhsa_float_round_mode_16_64 0
		.amdhsa_float_denorm_mode_32 3
		.amdhsa_float_denorm_mode_16_64 3
		.amdhsa_dx10_clamp 1
		.amdhsa_ieee_mode 1
		.amdhsa_fp16_overflow 0
		.amdhsa_workgroup_processor_mode 1
		.amdhsa_memory_ordered 1
		.amdhsa_forward_progress 0
		.amdhsa_shared_vgpr_count 0
		.amdhsa_exception_fp_ieee_invalid_op 0
		.amdhsa_exception_fp_denorm_src 0
		.amdhsa_exception_fp_ieee_div_zero 0
		.amdhsa_exception_fp_ieee_overflow 0
		.amdhsa_exception_fp_ieee_underflow 0
		.amdhsa_exception_fp_ieee_inexact 0
		.amdhsa_exception_int_div_zero 0
	.end_amdhsa_kernel
	.section	.text._ZL19rocblas_sbmv_kernelILb0ELi64ELi16EPKdS1_PdEviiT2_lT3_lllS4_lllS3_lT4_llli,"axG",@progbits,_ZL19rocblas_sbmv_kernelILb0ELi64ELi16EPKdS1_PdEviiT2_lT3_lllS4_lllS3_lT4_llli,comdat
.Lfunc_end5:
	.size	_ZL19rocblas_sbmv_kernelILb0ELi64ELi16EPKdS1_PdEviiT2_lT3_lllS4_lllS3_lT4_llli, .Lfunc_end5-_ZL19rocblas_sbmv_kernelILb0ELi64ELi16EPKdS1_PdEviiT2_lT3_lllS4_lllS3_lT4_llli
                                        ; -- End function
	.section	.AMDGPU.csdata,"",@progbits
; Kernel info:
; codeLenInByte = 1736
; NumSgprs: 54
; NumVgprs: 21
; ScratchSize: 0
; MemoryBound: 1
; FloatMode: 240
; IeeeMode: 1
; LDSByteSize: 8192 bytes/workgroup (compile time only)
; SGPRBlocks: 6
; VGPRBlocks: 2
; NumSGPRsForWavesPerEU: 54
; NumVGPRsForWavesPerEU: 21
; Occupancy: 16
; WaveLimiterHint : 0
; COMPUTE_PGM_RSRC2:SCRATCH_EN: 0
; COMPUTE_PGM_RSRC2:USER_SGPR: 14
; COMPUTE_PGM_RSRC2:TRAP_HANDLER: 0
; COMPUTE_PGM_RSRC2:TGID_X_EN: 1
; COMPUTE_PGM_RSRC2:TGID_Y_EN: 0
; COMPUTE_PGM_RSRC2:TGID_Z_EN: 1
; COMPUTE_PGM_RSRC2:TIDIG_COMP_CNT: 1
	.section	.text._ZL19rocblas_sbmv_kernelILb1ELi64ELi16EdPKdPdEviiT2_lT3_lllS4_lllS3_lT4_llli,"axG",@progbits,_ZL19rocblas_sbmv_kernelILb1ELi64ELi16EdPKdPdEviiT2_lT3_lllS4_lllS3_lT4_llli,comdat
	.globl	_ZL19rocblas_sbmv_kernelILb1ELi64ELi16EdPKdPdEviiT2_lT3_lllS4_lllS3_lT4_llli ; -- Begin function _ZL19rocblas_sbmv_kernelILb1ELi64ELi16EdPKdPdEviiT2_lT3_lllS4_lllS3_lT4_llli
	.p2align	8
	.type	_ZL19rocblas_sbmv_kernelILb1ELi64ELi16EdPKdPdEviiT2_lT3_lllS4_lllS3_lT4_llli,@function
_ZL19rocblas_sbmv_kernelILb1ELi64ELi16EdPKdPdEviiT2_lT3_lllS4_lllS3_lT4_llli: ; @_ZL19rocblas_sbmv_kernelILb1ELi64ELi16EdPKdPdEviiT2_lT3_lllS4_lllS3_lT4_llli
; %bb.0:
	s_load_b64 s[2:3], s[0:1], 0x9c
	s_waitcnt lgkmcnt(0)
	s_lshr_b32 s4, s2, 16
	s_and_b32 s2, s2, 0xffff
	s_and_b32 s3, s3, 0xffff
	s_mul_i32 s4, s4, s2
	s_delay_alu instid0(SALU_CYCLE_1) | instskip(NEXT) | instid1(SALU_CYCLE_1)
	s_mul_i32 s4, s4, s3
	s_cmpk_lg_i32 s4, 0x400
	s_cbranch_scc1 .LBB6_32
; %bb.1:
	s_clause 0x1
	s_load_b64 s[34:35], s[0:1], 0x8
	s_load_b64 s[12:13], s[0:1], 0x58
	s_waitcnt lgkmcnt(0)
	v_cmp_eq_f64_e64 s3, s[34:35], 0
	v_cmp_eq_f64_e64 s4, s[12:13], 1.0
	s_delay_alu instid0(VALU_DEP_1) | instskip(NEXT) | instid1(SALU_CYCLE_1)
	s_and_b32 s3, s3, s4
	s_and_b32 vcc_lo, exec_lo, s3
	s_cbranch_vccnz .LBB6_32
; %bb.2:
	v_cmp_neq_f64_e64 s16, s[34:35], 0
	s_clause 0x1
	s_load_b256 s[4:11], s[0:1], 0x68
	s_load_b64 s[36:37], s[0:1], 0x0
	v_and_b32_e32 v1, 0x3ff, v0
	v_bfe_u32 v0, v0, 10, 10
	s_delay_alu instid0(VALU_DEP_1)
	v_mad_u32_u24 v12, v0, s2, v1
	s_waitcnt lgkmcnt(0)
	s_mul_i32 s3, s15, s11
	s_mul_hi_u32 s11, s15, s10
	s_mul_i32 s10, s15, s10
	s_add_i32 s11, s11, s3
	s_delay_alu instid0(SALU_CYCLE_1) | instskip(NEXT) | instid1(SALU_CYCLE_1)
	s_lshl_b64 s[10:11], s[10:11], 3
	s_add_u32 s4, s4, s10
	s_addc_u32 s5, s5, s11
	s_lshl_b64 s[2:3], s[6:7], 3
	s_mov_b32 s6, 0
	s_add_u32 s4, s4, s2
	v_cmp_gt_u32_e64 s2, 64, v12
	s_addc_u32 s5, s5, s3
	s_and_b32 vcc_lo, exec_lo, s16
	s_cbranch_vccnz .LBB6_7
; %bb.3:
	v_lshl_add_u32 v4, s14, 6, v12
	s_mov_b32 s3, 0
                                        ; implicit-def: $vgpr2_vgpr3
                                        ; implicit-def: $vgpr0_vgpr1
	s_delay_alu instid0(VALU_DEP_1) | instskip(SKIP_1) | instid1(SALU_CYCLE_1)
	v_cmp_gt_i32_e32 vcc_lo, s36, v4
	s_and_b32 s7, s2, vcc_lo
	s_and_saveexec_b32 s2, s7
	s_cbranch_execz .LBB6_8
; %bb.4:
	v_cmp_eq_f64_e64 s6, s[12:13], 0
	v_ashrrev_i32_e32 v0, 31, v4
	v_mul_lo_u32 v2, v4, s9
	s_delay_alu instid0(VALU_DEP_2) | instskip(SKIP_1) | instid1(VALU_DEP_1)
	v_mul_lo_u32 v3, v0, s8
	v_mad_u64_u32 v[0:1], null, v4, s8, 0
	v_add3_u32 v1, v1, v2, v3
	v_mov_b32_e32 v2, 0
	v_mov_b32_e32 v3, 0
	s_and_b32 vcc_lo, exec_lo, s6
	s_cbranch_vccnz .LBB6_6
; %bb.5:
	s_delay_alu instid0(VALU_DEP_4) | instskip(NEXT) | instid1(VALU_DEP_1)
	v_lshlrev_b64 v[2:3], 3, v[0:1]
	v_add_co_u32 v2, vcc_lo, s4, v2
	s_delay_alu instid0(VALU_DEP_2)
	v_add_co_ci_u32_e32 v3, vcc_lo, s5, v3, vcc_lo
	global_load_b64 v[2:3], v[2:3], off
	s_waitcnt vmcnt(0)
	v_mul_f64 v[2:3], v[2:3], s[12:13]
.LBB6_6:
	s_mov_b32 s6, exec_lo
	s_or_b32 exec_lo, exec_lo, s2
	s_delay_alu instid0(SALU_CYCLE_1)
	s_and_b32 vcc_lo, exec_lo, s3
	s_cbranch_vccnz .LBB6_9
	s_branch .LBB6_30
.LBB6_7:
                                        ; implicit-def: $vgpr2_vgpr3
                                        ; implicit-def: $vgpr0_vgpr1
	s_cbranch_execnz .LBB6_9
	s_branch .LBB6_30
.LBB6_8:
	s_or_b32 exec_lo, exec_lo, s2
	s_delay_alu instid0(SALU_CYCLE_1)
	s_and_b32 vcc_lo, exec_lo, s3
	s_cbranch_vccz .LBB6_30
.LBB6_9:
	v_mov_b32_e32 v4, 0
	v_lshrrev_b32_e32 v0, 6, v12
	v_mov_b32_e32 v5, 0
	s_lshl_b32 s7, s14, 6
	s_mov_b32 s10, exec_lo
	s_delay_alu instid0(VALU_DEP_2)
	v_cmpx_gt_i32_e64 s36, v0
	s_cbranch_execz .LBB6_25
; %bb.10:
	s_load_b512 s[16:31], s[0:1], 0x18
	v_dual_mov_b32 v3, 0 :: v_dual_and_b32 v10, 63, v12
	s_delay_alu instid0(VALU_DEP_1) | instskip(NEXT) | instid1(VALU_DEP_1)
	v_or_b32_e32 v13, s7, v10
	v_cmp_gt_i32_e32 vcc_lo, s36, v13
	s_waitcnt lgkmcnt(0)
	s_mul_i32 s1, s15, s23
	s_mul_hi_u32 s2, s15, s22
	s_mul_i32 s0, s15, s22
	s_add_i32 s1, s2, s1
	v_mad_u64_u32 v[4:5], null, s20, v0, 0
	s_lshl_b64 s[0:1], s[0:1], 3
	s_mul_i32 s3, s15, s31
	s_add_u32 s14, s16, s0
	s_mul_hi_u32 s11, s15, s30
	s_mul_i32 s2, s15, s30
	s_addc_u32 s15, s17, s1
	s_lshl_b64 s[18:19], s[18:19], 3
	v_dual_mov_b32 v1, v3 :: v_dual_mov_b32 v2, v5
	s_add_u32 s22, s14, s18
	s_addc_u32 s15, s15, s19
	s_add_i32 s3, s11, s3
	v_mul_lo_u32 v11, v13, s21
	s_lshl_b64 s[2:3], s[2:3], 3
	v_mad_u64_u32 v[6:7], null, v13, s20, 0
	s_add_u32 s11, s24, s2
	s_addc_u32 s14, s25, s3
	s_lshl_b64 s[2:3], s[26:27], 3
	v_mad_u64_u32 v[8:9], null, s21, v0, v[2:3]
	s_add_u32 s11, s11, s2
	s_addc_u32 s14, s14, s3
	s_ashr_i32 s2, s7, 31
	v_sub_nc_u32_e32 v2, s37, v10
	s_mul_i32 s2, s2, s20
	v_add3_u32 v9, s37, s7, v10
	v_add3_u32 v7, v7, v11, s2
	v_mov_b32_e32 v5, v8
	s_add_u32 s2, s16, s18
	s_addc_u32 s3, s17, s19
	s_add_u32 s2, s2, s0
	v_lshlrev_b64 v[6:7], 3, v[6:7]
	v_lshlrev_b64 v[4:5], 3, v[4:5]
	s_addc_u32 s1, s3, s1
	v_subrev_nc_u32_e32 v14, s7, v2
	v_sub_nc_u32_e32 v2, v9, v0
	s_delay_alu instid0(VALU_DEP_4) | instskip(NEXT) | instid1(VALU_DEP_1)
	v_add_co_u32 v15, s0, s22, v6
	v_add_co_ci_u32_e64 v16, s0, s15, v7, s0
	v_add_co_u32 v17, s0, s2, v4
	s_delay_alu instid0(VALU_DEP_1)
	v_add_co_ci_u32_e64 v18, s0, s1, v5, s0
	v_dual_mov_b32 v4, 0 :: v_dual_mov_b32 v7, v1
	v_dual_mov_b32 v5, 0 :: v_dual_mov_b32 v6, v0
	s_mov_b32 s15, 0
	s_lshl_b64 s[2:3], s[20:21], 7
	s_branch .LBB6_13
.LBB6_11:                               ;   in Loop: Header=BB6_13 Depth=1
	s_or_b32 exec_lo, exec_lo, s1
.LBB6_12:                               ;   in Loop: Header=BB6_13 Depth=1
	s_delay_alu instid0(SALU_CYCLE_1) | instskip(SKIP_1) | instid1(VALU_DEP_1)
	s_or_b32 exec_lo, exec_lo, s16
	v_add_co_u32 v6, s0, v6, 16
	v_add_co_ci_u32_e64 v7, s0, 0, v7, s0
	v_add_co_u32 v17, s1, v17, s2
	s_delay_alu instid0(VALU_DEP_3) | instskip(SKIP_3) | instid1(VALU_DEP_4)
	v_cmp_le_i32_e64 s0, s36, v6
	v_add_nc_u32_e32 v0, 16, v0
	v_add_co_ci_u32_e64 v18, s1, s3, v18, s1
	v_add_nc_u32_e32 v2, -16, v2
	s_or_b32 s15, s0, s15
	s_delay_alu instid0(SALU_CYCLE_1)
	s_and_not1_b32 exec_lo, exec_lo, s15
	s_cbranch_execz .LBB6_24
.LBB6_13:                               ; =>This Inner Loop Header: Depth=1
	s_and_saveexec_b32 s16, vcc_lo
	s_cbranch_execz .LBB6_12
; %bb.14:                               ;   in Loop: Header=BB6_13 Depth=1
	s_mov_b32 s17, 0
                                        ; implicit-def: $vgpr8_vgpr9
                                        ; implicit-def: $vgpr10_vgpr11
	s_mov_b32 s1, exec_lo
	v_cmpx_ge_i32_e64 v6, v13
	s_xor_b32 s18, exec_lo, s1
	s_cbranch_execnz .LBB6_17
; %bb.15:                               ;   in Loop: Header=BB6_13 Depth=1
	s_and_not1_saveexec_b32 s18, s18
	s_cbranch_execnz .LBB6_20
.LBB6_16:                               ;   in Loop: Header=BB6_13 Depth=1
	s_or_b32 exec_lo, exec_lo, s18
	s_and_saveexec_b32 s1, s17
	s_cbranch_execz .LBB6_11
	s_branch .LBB6_23
.LBB6_17:                               ;   in Loop: Header=BB6_13 Depth=1
	v_cmp_ge_i32_e64 s0, s37, v2
	v_cmp_lt_i32_e64 s1, -1, v2
                                        ; implicit-def: $vgpr8_vgpr9
                                        ; implicit-def: $vgpr10_vgpr11
	s_delay_alu instid0(VALU_DEP_1) | instskip(SKIP_2) | instid1(SALU_CYCLE_1)
	s_and_b32 s0, s0, s1
	s_mov_b32 s1, 0
	s_and_saveexec_b32 s17, s0
	s_xor_b32 s17, exec_lo, s17
; %bb.18:                               ;   in Loop: Header=BB6_13 Depth=1
	v_lshlrev_b64 v[8:9], 3, v[2:3]
	v_mov_b32_e32 v1, v3
	s_mov_b32 s1, exec_lo
	s_delay_alu instid0(VALU_DEP_1) | instskip(NEXT) | instid1(VALU_DEP_3)
	v_dual_mov_b32 v11, v1 :: v_dual_mov_b32 v10, v0
	v_add_co_u32 v8, s0, v17, v8
	s_delay_alu instid0(VALU_DEP_1)
	v_add_co_ci_u32_e64 v9, s0, v18, v9, s0
; %bb.19:                               ;   in Loop: Header=BB6_13 Depth=1
	s_or_b32 exec_lo, exec_lo, s17
	s_delay_alu instid0(SALU_CYCLE_1)
	s_and_b32 s17, s1, exec_lo
	s_and_not1_saveexec_b32 s18, s18
	s_cbranch_execz .LBB6_16
.LBB6_20:                               ;   in Loop: Header=BB6_13 Depth=1
	v_add_nc_u32_e32 v10, v14, v6
                                        ; implicit-def: $vgpr8_vgpr9
	s_delay_alu instid0(VALU_DEP_1) | instskip(SKIP_1) | instid1(VALU_DEP_1)
	v_cmp_ge_i32_e64 s0, s37, v10
	v_cmp_lt_i32_e64 s1, -1, v10
	s_and_b32 s19, s0, s1
	s_mov_b32 s0, s17
	s_and_saveexec_b32 s1, s19
; %bb.21:                               ;   in Loop: Header=BB6_13 Depth=1
	v_mov_b32_e32 v11, v3
	s_delay_alu instid0(VALU_DEP_1) | instskip(NEXT) | instid1(VALU_DEP_1)
	v_lshlrev_b64 v[8:9], 3, v[10:11]
	v_add_co_u32 v8, s0, v15, v8
	s_delay_alu instid0(VALU_DEP_1)
	v_add_co_ci_u32_e64 v9, s0, v16, v9, s0
	s_or_b32 s0, s17, exec_lo
; %bb.22:                               ;   in Loop: Header=BB6_13 Depth=1
	s_or_b32 exec_lo, exec_lo, s1
	v_dual_mov_b32 v11, v7 :: v_dual_mov_b32 v10, v6
	s_and_not1_b32 s1, s17, exec_lo
	s_and_b32 s0, s0, exec_lo
	s_delay_alu instid0(SALU_CYCLE_1)
	s_or_b32 s17, s1, s0
	s_or_b32 exec_lo, exec_lo, s18
	s_and_saveexec_b32 s1, s17
	s_cbranch_execz .LBB6_11
.LBB6_23:                               ;   in Loop: Header=BB6_13 Depth=1
	v_mul_lo_u32 v1, v11, s28
	v_mul_lo_u32 v11, v10, s29
	v_mad_u64_u32 v[19:20], null, v10, s28, 0
	s_delay_alu instid0(VALU_DEP_1) | instskip(NEXT) | instid1(VALU_DEP_1)
	v_add3_u32 v20, v20, v11, v1
	v_lshlrev_b64 v[10:11], 3, v[19:20]
	s_delay_alu instid0(VALU_DEP_1) | instskip(NEXT) | instid1(VALU_DEP_1)
	v_add_co_u32 v10, s0, s11, v10
	v_add_co_ci_u32_e64 v11, s0, s14, v11, s0
	global_load_b64 v[8:9], v[8:9], off
	global_load_b64 v[10:11], v[10:11], off
	s_waitcnt vmcnt(0)
	v_fma_f64 v[4:5], v[8:9], v[10:11], v[4:5]
	s_branch .LBB6_11
.LBB6_24:
	s_or_b32 exec_lo, exec_lo, s15
.LBB6_25:
	s_delay_alu instid0(SALU_CYCLE_1) | instskip(SKIP_3) | instid1(VALU_DEP_3)
	s_or_b32 exec_lo, exec_lo, s10
	v_add_nc_u32_e32 v7, s7, v12
	v_cmp_gt_u32_e32 vcc_lo, 64, v12
	v_lshlrev_b32_e32 v6, 3, v12
                                        ; implicit-def: $vgpr2_vgpr3
                                        ; implicit-def: $vgpr0_vgpr1
	v_cmp_gt_i32_e64 s0, s36, v7
	ds_store_b64 v6, v[4:5]
	s_waitcnt lgkmcnt(0)
	s_barrier
	s_and_b32 s1, vcc_lo, s0
	buffer_gl0_inv
	s_and_saveexec_b32 s0, s1
	s_cbranch_execz .LBB6_29
; %bb.26:
	ds_load_2addr_stride64_b64 v[0:3], v6 offset1:1
	ds_load_2addr_stride64_b64 v[8:11], v6 offset0:2 offset1:3
	v_cmp_eq_f64_e64 s1, s[12:13], 0
	s_waitcnt lgkmcnt(1)
	v_add_f64 v[0:1], v[0:1], v[2:3]
	s_delay_alu instid0(VALU_DEP_2) | instskip(SKIP_1) | instid1(VALU_DEP_1)
	s_and_b32 vcc_lo, exec_lo, s1
	s_waitcnt lgkmcnt(0)
	v_add_f64 v[0:1], v[8:9], v[0:1]
	s_delay_alu instid0(VALU_DEP_1) | instskip(SKIP_4) | instid1(VALU_DEP_1)
	v_add_f64 v[4:5], v[10:11], v[0:1]
	ds_load_2addr_stride64_b64 v[0:3], v6 offset0:4 offset1:5
	ds_load_2addr_stride64_b64 v[8:11], v6 offset0:6 offset1:7
	s_waitcnt lgkmcnt(1)
	v_add_f64 v[0:1], v[0:1], v[4:5]
	v_add_f64 v[0:1], v[2:3], v[0:1]
	s_waitcnt lgkmcnt(0)
	s_delay_alu instid0(VALU_DEP_1) | instskip(NEXT) | instid1(VALU_DEP_1)
	v_add_f64 v[0:1], v[8:9], v[0:1]
	v_add_f64 v[4:5], v[10:11], v[0:1]
	ds_load_2addr_stride64_b64 v[0:3], v6 offset0:8 offset1:9
	ds_load_2addr_stride64_b64 v[8:11], v6 offset0:10 offset1:11
	s_waitcnt lgkmcnt(1)
	v_add_f64 v[0:1], v[0:1], v[4:5]
	s_delay_alu instid0(VALU_DEP_1) | instskip(SKIP_1) | instid1(VALU_DEP_1)
	v_add_f64 v[0:1], v[2:3], v[0:1]
	s_waitcnt lgkmcnt(0)
	v_add_f64 v[0:1], v[8:9], v[0:1]
	s_delay_alu instid0(VALU_DEP_1) | instskip(SKIP_4) | instid1(VALU_DEP_1)
	v_add_f64 v[4:5], v[10:11], v[0:1]
	ds_load_2addr_stride64_b64 v[0:3], v6 offset0:12 offset1:13
	ds_load_2addr_stride64_b64 v[8:11], v6 offset0:14 offset1:15
	s_waitcnt lgkmcnt(1)
	v_add_f64 v[0:1], v[0:1], v[4:5]
	v_add_f64 v[0:1], v[2:3], v[0:1]
	s_waitcnt lgkmcnt(0)
	s_delay_alu instid0(VALU_DEP_1) | instskip(SKIP_1) | instid1(VALU_DEP_2)
	v_add_f64 v[0:1], v[8:9], v[0:1]
	v_mul_lo_u32 v8, v7, s9
	v_add_f64 v[4:5], v[10:11], v[0:1]
	v_ashrrev_i32_e32 v0, 31, v7
	s_delay_alu instid0(VALU_DEP_1) | instskip(SKIP_1) | instid1(VALU_DEP_1)
	v_mul_lo_u32 v9, v0, s8
	v_mad_u64_u32 v[0:1], null, v7, s8, 0
	v_add3_u32 v1, v1, v8, v9
	v_mul_f64 v[2:3], v[4:5], s[34:35]
	ds_store_b64 v6, v[4:5]
	s_cbranch_vccnz .LBB6_28
; %bb.27:
	v_lshlrev_b64 v[4:5], 3, v[0:1]
	s_delay_alu instid0(VALU_DEP_1) | instskip(NEXT) | instid1(VALU_DEP_2)
	v_add_co_u32 v4, vcc_lo, s4, v4
	v_add_co_ci_u32_e32 v5, vcc_lo, s5, v5, vcc_lo
	global_load_b64 v[4:5], v[4:5], off
	s_waitcnt vmcnt(0)
	v_fma_f64 v[2:3], v[4:5], s[12:13], v[2:3]
.LBB6_28:
	s_or_b32 s6, s6, exec_lo
.LBB6_29:
	s_or_b32 exec_lo, exec_lo, s0
.LBB6_30:
	s_and_saveexec_b32 s0, s6
	s_cbranch_execz .LBB6_32
; %bb.31:
	v_lshlrev_b64 v[0:1], 3, v[0:1]
	s_delay_alu instid0(VALU_DEP_1) | instskip(NEXT) | instid1(VALU_DEP_2)
	v_add_co_u32 v0, vcc_lo, s4, v0
	v_add_co_ci_u32_e32 v1, vcc_lo, s5, v1, vcc_lo
	global_store_b64 v[0:1], v[2:3], off
.LBB6_32:
	s_nop 0
	s_sendmsg sendmsg(MSG_DEALLOC_VGPRS)
	s_endpgm
	.section	.rodata,"a",@progbits
	.p2align	6, 0x0
	.amdhsa_kernel _ZL19rocblas_sbmv_kernelILb1ELi64ELi16EdPKdPdEviiT2_lT3_lllS4_lllS3_lT4_llli
		.amdhsa_group_segment_fixed_size 8192
		.amdhsa_private_segment_fixed_size 0
		.amdhsa_kernarg_size 400
		.amdhsa_user_sgpr_count 14
		.amdhsa_user_sgpr_dispatch_ptr 0
		.amdhsa_user_sgpr_queue_ptr 0
		.amdhsa_user_sgpr_kernarg_segment_ptr 1
		.amdhsa_user_sgpr_dispatch_id 0
		.amdhsa_user_sgpr_private_segment_size 0
		.amdhsa_wavefront_size32 1
		.amdhsa_uses_dynamic_stack 0
		.amdhsa_enable_private_segment 0
		.amdhsa_system_sgpr_workgroup_id_x 1
		.amdhsa_system_sgpr_workgroup_id_y 0
		.amdhsa_system_sgpr_workgroup_id_z 1
		.amdhsa_system_sgpr_workgroup_info 0
		.amdhsa_system_vgpr_workitem_id 1
		.amdhsa_next_free_vgpr 21
		.amdhsa_next_free_sgpr 38
		.amdhsa_reserve_vcc 1
		.amdhsa_float_round_mode_32 0
		.amdhsa_float_round_mode_16_64 0
		.amdhsa_float_denorm_mode_32 3
		.amdhsa_float_denorm_mode_16_64 3
		.amdhsa_dx10_clamp 1
		.amdhsa_ieee_mode 1
		.amdhsa_fp16_overflow 0
		.amdhsa_workgroup_processor_mode 1
		.amdhsa_memory_ordered 1
		.amdhsa_forward_progress 0
		.amdhsa_shared_vgpr_count 0
		.amdhsa_exception_fp_ieee_invalid_op 0
		.amdhsa_exception_fp_denorm_src 0
		.amdhsa_exception_fp_ieee_div_zero 0
		.amdhsa_exception_fp_ieee_overflow 0
		.amdhsa_exception_fp_ieee_underflow 0
		.amdhsa_exception_fp_ieee_inexact 0
		.amdhsa_exception_int_div_zero 0
	.end_amdhsa_kernel
	.section	.text._ZL19rocblas_sbmv_kernelILb1ELi64ELi16EdPKdPdEviiT2_lT3_lllS4_lllS3_lT4_llli,"axG",@progbits,_ZL19rocblas_sbmv_kernelILb1ELi64ELi16EdPKdPdEviiT2_lT3_lllS4_lllS3_lT4_llli,comdat
.Lfunc_end6:
	.size	_ZL19rocblas_sbmv_kernelILb1ELi64ELi16EdPKdPdEviiT2_lT3_lllS4_lllS3_lT4_llli, .Lfunc_end6-_ZL19rocblas_sbmv_kernelILb1ELi64ELi16EdPKdPdEviiT2_lT3_lllS4_lllS3_lT4_llli
                                        ; -- End function
	.section	.AMDGPU.csdata,"",@progbits
; Kernel info:
; codeLenInByte = 1688
; NumSgprs: 40
; NumVgprs: 21
; ScratchSize: 0
; MemoryBound: 1
; FloatMode: 240
; IeeeMode: 1
; LDSByteSize: 8192 bytes/workgroup (compile time only)
; SGPRBlocks: 4
; VGPRBlocks: 2
; NumSGPRsForWavesPerEU: 40
; NumVGPRsForWavesPerEU: 21
; Occupancy: 16
; WaveLimiterHint : 1
; COMPUTE_PGM_RSRC2:SCRATCH_EN: 0
; COMPUTE_PGM_RSRC2:USER_SGPR: 14
; COMPUTE_PGM_RSRC2:TRAP_HANDLER: 0
; COMPUTE_PGM_RSRC2:TGID_X_EN: 1
; COMPUTE_PGM_RSRC2:TGID_Y_EN: 0
; COMPUTE_PGM_RSRC2:TGID_Z_EN: 1
; COMPUTE_PGM_RSRC2:TIDIG_COMP_CNT: 1
	.section	.text._ZL19rocblas_sbmv_kernelILb0ELi64ELi16EdPKdPdEviiT2_lT3_lllS4_lllS3_lT4_llli,"axG",@progbits,_ZL19rocblas_sbmv_kernelILb0ELi64ELi16EdPKdPdEviiT2_lT3_lllS4_lllS3_lT4_llli,comdat
	.globl	_ZL19rocblas_sbmv_kernelILb0ELi64ELi16EdPKdPdEviiT2_lT3_lllS4_lllS3_lT4_llli ; -- Begin function _ZL19rocblas_sbmv_kernelILb0ELi64ELi16EdPKdPdEviiT2_lT3_lllS4_lllS3_lT4_llli
	.p2align	8
	.type	_ZL19rocblas_sbmv_kernelILb0ELi64ELi16EdPKdPdEviiT2_lT3_lllS4_lllS3_lT4_llli,@function
_ZL19rocblas_sbmv_kernelILb0ELi64ELi16EdPKdPdEviiT2_lT3_lllS4_lllS3_lT4_llli: ; @_ZL19rocblas_sbmv_kernelILb0ELi64ELi16EdPKdPdEviiT2_lT3_lllS4_lllS3_lT4_llli
; %bb.0:
	s_load_b64 s[2:3], s[0:1], 0x9c
	s_waitcnt lgkmcnt(0)
	s_lshr_b32 s4, s2, 16
	s_and_b32 s2, s2, 0xffff
	s_and_b32 s3, s3, 0xffff
	s_mul_i32 s4, s4, s2
	s_delay_alu instid0(SALU_CYCLE_1) | instskip(NEXT) | instid1(SALU_CYCLE_1)
	s_mul_i32 s4, s4, s3
	s_cmpk_lg_i32 s4, 0x400
	s_cbranch_scc1 .LBB7_32
; %bb.1:
	s_clause 0x1
	s_load_b64 s[34:35], s[0:1], 0x8
	s_load_b64 s[12:13], s[0:1], 0x58
	s_waitcnt lgkmcnt(0)
	v_cmp_eq_f64_e64 s3, s[34:35], 0
	v_cmp_eq_f64_e64 s4, s[12:13], 1.0
	s_delay_alu instid0(VALU_DEP_1) | instskip(NEXT) | instid1(SALU_CYCLE_1)
	s_and_b32 s3, s3, s4
	s_and_b32 vcc_lo, exec_lo, s3
	s_cbranch_vccnz .LBB7_32
; %bb.2:
	v_cmp_neq_f64_e64 s16, s[34:35], 0
	s_clause 0x1
	s_load_b256 s[4:11], s[0:1], 0x68
	s_load_b64 s[36:37], s[0:1], 0x0
	v_and_b32_e32 v1, 0x3ff, v0
	v_bfe_u32 v0, v0, 10, 10
	s_delay_alu instid0(VALU_DEP_1)
	v_mad_u32_u24 v12, v0, s2, v1
	s_waitcnt lgkmcnt(0)
	s_mul_i32 s3, s15, s11
	s_mul_hi_u32 s11, s15, s10
	s_mul_i32 s10, s15, s10
	s_add_i32 s11, s11, s3
	s_delay_alu instid0(SALU_CYCLE_1) | instskip(NEXT) | instid1(SALU_CYCLE_1)
	s_lshl_b64 s[10:11], s[10:11], 3
	s_add_u32 s4, s4, s10
	s_addc_u32 s5, s5, s11
	s_lshl_b64 s[2:3], s[6:7], 3
	s_mov_b32 s6, 0
	s_add_u32 s4, s4, s2
	v_cmp_gt_u32_e64 s2, 64, v12
	s_addc_u32 s5, s5, s3
	s_and_b32 vcc_lo, exec_lo, s16
	s_cbranch_vccnz .LBB7_7
; %bb.3:
	v_lshl_add_u32 v4, s14, 6, v12
	s_mov_b32 s3, 0
                                        ; implicit-def: $vgpr2_vgpr3
                                        ; implicit-def: $vgpr0_vgpr1
	s_delay_alu instid0(VALU_DEP_1) | instskip(SKIP_1) | instid1(SALU_CYCLE_1)
	v_cmp_gt_i32_e32 vcc_lo, s36, v4
	s_and_b32 s7, s2, vcc_lo
	s_and_saveexec_b32 s2, s7
	s_cbranch_execz .LBB7_8
; %bb.4:
	v_cmp_eq_f64_e64 s6, s[12:13], 0
	v_ashrrev_i32_e32 v0, 31, v4
	v_mul_lo_u32 v2, v4, s9
	s_delay_alu instid0(VALU_DEP_2) | instskip(SKIP_1) | instid1(VALU_DEP_1)
	v_mul_lo_u32 v3, v0, s8
	v_mad_u64_u32 v[0:1], null, v4, s8, 0
	v_add3_u32 v1, v1, v2, v3
	v_mov_b32_e32 v2, 0
	v_mov_b32_e32 v3, 0
	s_and_b32 vcc_lo, exec_lo, s6
	s_cbranch_vccnz .LBB7_6
; %bb.5:
	s_delay_alu instid0(VALU_DEP_4) | instskip(NEXT) | instid1(VALU_DEP_1)
	v_lshlrev_b64 v[2:3], 3, v[0:1]
	v_add_co_u32 v2, vcc_lo, s4, v2
	s_delay_alu instid0(VALU_DEP_2)
	v_add_co_ci_u32_e32 v3, vcc_lo, s5, v3, vcc_lo
	global_load_b64 v[2:3], v[2:3], off
	s_waitcnt vmcnt(0)
	v_mul_f64 v[2:3], v[2:3], s[12:13]
.LBB7_6:
	s_mov_b32 s6, exec_lo
	s_or_b32 exec_lo, exec_lo, s2
	s_delay_alu instid0(SALU_CYCLE_1)
	s_and_b32 vcc_lo, exec_lo, s3
	s_cbranch_vccnz .LBB7_9
	s_branch .LBB7_30
.LBB7_7:
                                        ; implicit-def: $vgpr2_vgpr3
                                        ; implicit-def: $vgpr0_vgpr1
	s_cbranch_execnz .LBB7_9
	s_branch .LBB7_30
.LBB7_8:
	s_or_b32 exec_lo, exec_lo, s2
	s_delay_alu instid0(SALU_CYCLE_1)
	s_and_b32 vcc_lo, exec_lo, s3
	s_cbranch_vccz .LBB7_30
.LBB7_9:
	v_mov_b32_e32 v4, 0
	v_lshrrev_b32_e32 v0, 6, v12
	v_mov_b32_e32 v5, 0
	s_lshl_b32 s7, s14, 6
	s_mov_b32 s10, exec_lo
	s_delay_alu instid0(VALU_DEP_2)
	v_cmpx_gt_i32_e64 s36, v0
	s_cbranch_execz .LBB7_25
; %bb.10:
	s_load_b512 s[16:31], s[0:1], 0x18
	v_dual_mov_b32 v3, 0 :: v_dual_and_b32 v2, 63, v12
	s_delay_alu instid0(VALU_DEP_1) | instskip(NEXT) | instid1(VALU_DEP_2)
	v_or_b32_e32 v13, s7, v2
	v_dual_mov_b32 v1, v3 :: v_dual_add_nc_u32 v8, s7, v2
	s_delay_alu instid0(VALU_DEP_2) | instskip(NEXT) | instid1(VALU_DEP_2)
	v_cmp_gt_i32_e32 vcc_lo, s36, v13
	v_sub_nc_u32_e32 v14, 0, v8
	s_waitcnt lgkmcnt(0)
	s_mul_i32 s1, s15, s23
	s_mul_hi_u32 s2, s15, s22
	v_mad_u64_u32 v[4:5], null, s20, v0, 0
	s_mul_i32 s0, s15, s22
	s_add_i32 s1, s2, s1
	s_mul_i32 s3, s15, s31
	s_lshl_b64 s[0:1], s[0:1], 3
	s_mul_hi_u32 s11, s15, s30
	s_add_u32 s14, s16, s0
	s_mul_i32 s2, s15, s30
	s_addc_u32 s15, s17, s1
	s_lshl_b64 s[18:19], s[18:19], 3
	v_mov_b32_e32 v2, v5
	s_add_u32 s22, s14, s18
	s_addc_u32 s15, s15, s19
	s_add_i32 s3, s11, s3
	v_mul_lo_u32 v9, v13, s21
	s_lshl_b64 s[2:3], s[2:3], 3
	v_mad_u64_u32 v[5:6], null, s21, v0, v[2:3]
	s_add_u32 s11, s24, s2
	v_mad_u64_u32 v[6:7], null, v13, s20, 0
	s_addc_u32 s14, s25, s3
	s_lshl_b64 s[2:3], s[26:27], 3
	v_sub_nc_u32_e32 v2, v8, v0
	s_add_u32 s11, s11, s2
	s_addc_u32 s14, s14, s3
	s_ashr_i32 s2, s7, 31
	v_lshlrev_b64 v[4:5], 3, v[4:5]
	s_mul_i32 s2, s2, s20
	s_add_u32 s3, s16, s18
	v_add3_u32 v7, v7, v9, s2
	s_addc_u32 s2, s17, s19
	s_add_u32 s0, s3, s0
	s_addc_u32 s1, s2, s1
	v_add_co_u32 v15, s0, s0, v4
	v_lshlrev_b64 v[6:7], 3, v[6:7]
	v_add_co_ci_u32_e64 v16, s0, s1, v5, s0
	v_mov_b32_e32 v4, 0
	v_mov_b32_e32 v5, 0
	s_lshl_b64 s[2:3], s[20:21], 7
	s_delay_alu instid0(VALU_DEP_4) | instskip(NEXT) | instid1(VALU_DEP_1)
	v_add_co_u32 v17, s0, s22, v6
	v_add_co_ci_u32_e64 v18, s0, s15, v7, s0
	v_dual_mov_b32 v7, v1 :: v_dual_mov_b32 v6, v0
	s_mov_b32 s15, 0
	s_branch .LBB7_13
.LBB7_11:                               ;   in Loop: Header=BB7_13 Depth=1
	s_or_b32 exec_lo, exec_lo, s1
.LBB7_12:                               ;   in Loop: Header=BB7_13 Depth=1
	s_delay_alu instid0(SALU_CYCLE_1) | instskip(SKIP_1) | instid1(VALU_DEP_1)
	s_or_b32 exec_lo, exec_lo, s16
	v_add_co_u32 v6, s0, v6, 16
	v_add_co_ci_u32_e64 v7, s0, 0, v7, s0
	v_add_co_u32 v15, s1, v15, s2
	s_delay_alu instid0(VALU_DEP_3) | instskip(SKIP_3) | instid1(VALU_DEP_4)
	v_cmp_le_i32_e64 s0, s36, v6
	v_add_nc_u32_e32 v0, 16, v0
	v_add_co_ci_u32_e64 v16, s1, s3, v16, s1
	v_add_nc_u32_e32 v2, -16, v2
	s_or_b32 s15, s0, s15
	s_delay_alu instid0(SALU_CYCLE_1)
	s_and_not1_b32 exec_lo, exec_lo, s15
	s_cbranch_execz .LBB7_24
.LBB7_13:                               ; =>This Inner Loop Header: Depth=1
	s_and_saveexec_b32 s16, vcc_lo
	s_cbranch_execz .LBB7_12
; %bb.14:                               ;   in Loop: Header=BB7_13 Depth=1
	s_mov_b32 s17, 0
                                        ; implicit-def: $vgpr8_vgpr9
                                        ; implicit-def: $vgpr10_vgpr11
	s_mov_b32 s1, exec_lo
	v_cmpx_le_i32_e64 v6, v13
	s_xor_b32 s18, exec_lo, s1
	s_cbranch_execnz .LBB7_17
; %bb.15:                               ;   in Loop: Header=BB7_13 Depth=1
	s_and_not1_saveexec_b32 s18, s18
	s_cbranch_execnz .LBB7_20
.LBB7_16:                               ;   in Loop: Header=BB7_13 Depth=1
	s_or_b32 exec_lo, exec_lo, s18
	s_and_saveexec_b32 s1, s17
	s_cbranch_execz .LBB7_11
	s_branch .LBB7_23
.LBB7_17:                               ;   in Loop: Header=BB7_13 Depth=1
	v_cmp_ge_i32_e64 s0, s37, v2
	v_cmp_lt_i32_e64 s1, -1, v2
                                        ; implicit-def: $vgpr8_vgpr9
                                        ; implicit-def: $vgpr10_vgpr11
	s_delay_alu instid0(VALU_DEP_1)
	s_and_b32 s0, s0, s1
	s_mov_b32 s1, 0
	s_and_saveexec_b32 s17, s0
; %bb.18:                               ;   in Loop: Header=BB7_13 Depth=1
	v_lshlrev_b64 v[8:9], 3, v[2:3]
	v_mov_b32_e32 v1, v3
	s_mov_b32 s1, exec_lo
	s_delay_alu instid0(VALU_DEP_1) | instskip(NEXT) | instid1(VALU_DEP_3)
	v_dual_mov_b32 v11, v1 :: v_dual_mov_b32 v10, v0
	v_add_co_u32 v8, s0, v15, v8
	s_delay_alu instid0(VALU_DEP_1)
	v_add_co_ci_u32_e64 v9, s0, v16, v9, s0
; %bb.19:                               ;   in Loop: Header=BB7_13 Depth=1
	s_or_b32 exec_lo, exec_lo, s17
	s_delay_alu instid0(SALU_CYCLE_1)
	s_and_b32 s17, s1, exec_lo
	s_and_not1_saveexec_b32 s18, s18
	s_cbranch_execz .LBB7_16
.LBB7_20:                               ;   in Loop: Header=BB7_13 Depth=1
	v_add_nc_u32_e32 v10, v14, v6
                                        ; implicit-def: $vgpr8_vgpr9
	s_delay_alu instid0(VALU_DEP_1) | instskip(SKIP_1) | instid1(VALU_DEP_1)
	v_cmp_ge_i32_e64 s0, s37, v10
	v_cmp_lt_i32_e64 s1, -1, v10
	s_and_b32 s19, s0, s1
	s_mov_b32 s0, s17
	s_and_saveexec_b32 s1, s19
; %bb.21:                               ;   in Loop: Header=BB7_13 Depth=1
	v_mov_b32_e32 v11, v3
	s_delay_alu instid0(VALU_DEP_1) | instskip(NEXT) | instid1(VALU_DEP_1)
	v_lshlrev_b64 v[8:9], 3, v[10:11]
	v_add_co_u32 v8, s0, v17, v8
	s_delay_alu instid0(VALU_DEP_1)
	v_add_co_ci_u32_e64 v9, s0, v18, v9, s0
	s_or_b32 s0, s17, exec_lo
; %bb.22:                               ;   in Loop: Header=BB7_13 Depth=1
	s_or_b32 exec_lo, exec_lo, s1
	v_dual_mov_b32 v11, v7 :: v_dual_mov_b32 v10, v6
	s_and_not1_b32 s1, s17, exec_lo
	s_and_b32 s0, s0, exec_lo
	s_delay_alu instid0(SALU_CYCLE_1)
	s_or_b32 s17, s1, s0
	s_or_b32 exec_lo, exec_lo, s18
	s_and_saveexec_b32 s1, s17
	s_cbranch_execz .LBB7_11
.LBB7_23:                               ;   in Loop: Header=BB7_13 Depth=1
	v_mul_lo_u32 v1, v11, s28
	v_mul_lo_u32 v11, v10, s29
	v_mad_u64_u32 v[19:20], null, v10, s28, 0
	s_delay_alu instid0(VALU_DEP_1) | instskip(NEXT) | instid1(VALU_DEP_1)
	v_add3_u32 v20, v20, v11, v1
	v_lshlrev_b64 v[10:11], 3, v[19:20]
	s_delay_alu instid0(VALU_DEP_1) | instskip(NEXT) | instid1(VALU_DEP_1)
	v_add_co_u32 v10, s0, s11, v10
	v_add_co_ci_u32_e64 v11, s0, s14, v11, s0
	global_load_b64 v[8:9], v[8:9], off
	global_load_b64 v[10:11], v[10:11], off
	s_waitcnt vmcnt(0)
	v_fma_f64 v[4:5], v[8:9], v[10:11], v[4:5]
	s_branch .LBB7_11
.LBB7_24:
	s_or_b32 exec_lo, exec_lo, s15
.LBB7_25:
	s_delay_alu instid0(SALU_CYCLE_1) | instskip(SKIP_3) | instid1(VALU_DEP_3)
	s_or_b32 exec_lo, exec_lo, s10
	v_add_nc_u32_e32 v7, s7, v12
	v_cmp_gt_u32_e32 vcc_lo, 64, v12
	v_lshlrev_b32_e32 v6, 3, v12
                                        ; implicit-def: $vgpr2_vgpr3
                                        ; implicit-def: $vgpr0_vgpr1
	v_cmp_gt_i32_e64 s0, s36, v7
	ds_store_b64 v6, v[4:5]
	s_waitcnt lgkmcnt(0)
	s_barrier
	s_and_b32 s1, vcc_lo, s0
	buffer_gl0_inv
	s_and_saveexec_b32 s0, s1
	s_cbranch_execz .LBB7_29
; %bb.26:
	ds_load_2addr_stride64_b64 v[0:3], v6 offset1:1
	ds_load_2addr_stride64_b64 v[8:11], v6 offset0:2 offset1:3
	v_cmp_eq_f64_e64 s1, s[12:13], 0
	s_waitcnt lgkmcnt(1)
	v_add_f64 v[0:1], v[0:1], v[2:3]
	s_delay_alu instid0(VALU_DEP_2) | instskip(SKIP_1) | instid1(VALU_DEP_1)
	s_and_b32 vcc_lo, exec_lo, s1
	s_waitcnt lgkmcnt(0)
	v_add_f64 v[0:1], v[8:9], v[0:1]
	s_delay_alu instid0(VALU_DEP_1) | instskip(SKIP_4) | instid1(VALU_DEP_1)
	v_add_f64 v[4:5], v[10:11], v[0:1]
	ds_load_2addr_stride64_b64 v[0:3], v6 offset0:4 offset1:5
	ds_load_2addr_stride64_b64 v[8:11], v6 offset0:6 offset1:7
	s_waitcnt lgkmcnt(1)
	v_add_f64 v[0:1], v[0:1], v[4:5]
	v_add_f64 v[0:1], v[2:3], v[0:1]
	s_waitcnt lgkmcnt(0)
	s_delay_alu instid0(VALU_DEP_1) | instskip(NEXT) | instid1(VALU_DEP_1)
	v_add_f64 v[0:1], v[8:9], v[0:1]
	v_add_f64 v[4:5], v[10:11], v[0:1]
	ds_load_2addr_stride64_b64 v[0:3], v6 offset0:8 offset1:9
	ds_load_2addr_stride64_b64 v[8:11], v6 offset0:10 offset1:11
	s_waitcnt lgkmcnt(1)
	v_add_f64 v[0:1], v[0:1], v[4:5]
	s_delay_alu instid0(VALU_DEP_1) | instskip(SKIP_1) | instid1(VALU_DEP_1)
	v_add_f64 v[0:1], v[2:3], v[0:1]
	s_waitcnt lgkmcnt(0)
	v_add_f64 v[0:1], v[8:9], v[0:1]
	s_delay_alu instid0(VALU_DEP_1) | instskip(SKIP_4) | instid1(VALU_DEP_1)
	v_add_f64 v[4:5], v[10:11], v[0:1]
	ds_load_2addr_stride64_b64 v[0:3], v6 offset0:12 offset1:13
	ds_load_2addr_stride64_b64 v[8:11], v6 offset0:14 offset1:15
	s_waitcnt lgkmcnt(1)
	v_add_f64 v[0:1], v[0:1], v[4:5]
	v_add_f64 v[0:1], v[2:3], v[0:1]
	s_waitcnt lgkmcnt(0)
	s_delay_alu instid0(VALU_DEP_1) | instskip(SKIP_1) | instid1(VALU_DEP_2)
	v_add_f64 v[0:1], v[8:9], v[0:1]
	v_mul_lo_u32 v8, v7, s9
	v_add_f64 v[4:5], v[10:11], v[0:1]
	v_ashrrev_i32_e32 v0, 31, v7
	s_delay_alu instid0(VALU_DEP_1) | instskip(SKIP_1) | instid1(VALU_DEP_1)
	v_mul_lo_u32 v9, v0, s8
	v_mad_u64_u32 v[0:1], null, v7, s8, 0
	v_add3_u32 v1, v1, v8, v9
	v_mul_f64 v[2:3], v[4:5], s[34:35]
	ds_store_b64 v6, v[4:5]
	s_cbranch_vccnz .LBB7_28
; %bb.27:
	v_lshlrev_b64 v[4:5], 3, v[0:1]
	s_delay_alu instid0(VALU_DEP_1) | instskip(NEXT) | instid1(VALU_DEP_2)
	v_add_co_u32 v4, vcc_lo, s4, v4
	v_add_co_ci_u32_e32 v5, vcc_lo, s5, v5, vcc_lo
	global_load_b64 v[4:5], v[4:5], off
	s_waitcnt vmcnt(0)
	v_fma_f64 v[2:3], v[4:5], s[12:13], v[2:3]
.LBB7_28:
	s_or_b32 s6, s6, exec_lo
.LBB7_29:
	s_or_b32 exec_lo, exec_lo, s0
.LBB7_30:
	s_and_saveexec_b32 s0, s6
	s_cbranch_execz .LBB7_32
; %bb.31:
	v_lshlrev_b64 v[0:1], 3, v[0:1]
	s_delay_alu instid0(VALU_DEP_1) | instskip(NEXT) | instid1(VALU_DEP_2)
	v_add_co_u32 v0, vcc_lo, s4, v0
	v_add_co_ci_u32_e32 v1, vcc_lo, s5, v1, vcc_lo
	global_store_b64 v[0:1], v[2:3], off
.LBB7_32:
	s_nop 0
	s_sendmsg sendmsg(MSG_DEALLOC_VGPRS)
	s_endpgm
	.section	.rodata,"a",@progbits
	.p2align	6, 0x0
	.amdhsa_kernel _ZL19rocblas_sbmv_kernelILb0ELi64ELi16EdPKdPdEviiT2_lT3_lllS4_lllS3_lT4_llli
		.amdhsa_group_segment_fixed_size 8192
		.amdhsa_private_segment_fixed_size 0
		.amdhsa_kernarg_size 400
		.amdhsa_user_sgpr_count 14
		.amdhsa_user_sgpr_dispatch_ptr 0
		.amdhsa_user_sgpr_queue_ptr 0
		.amdhsa_user_sgpr_kernarg_segment_ptr 1
		.amdhsa_user_sgpr_dispatch_id 0
		.amdhsa_user_sgpr_private_segment_size 0
		.amdhsa_wavefront_size32 1
		.amdhsa_uses_dynamic_stack 0
		.amdhsa_enable_private_segment 0
		.amdhsa_system_sgpr_workgroup_id_x 1
		.amdhsa_system_sgpr_workgroup_id_y 0
		.amdhsa_system_sgpr_workgroup_id_z 1
		.amdhsa_system_sgpr_workgroup_info 0
		.amdhsa_system_vgpr_workitem_id 1
		.amdhsa_next_free_vgpr 21
		.amdhsa_next_free_sgpr 38
		.amdhsa_reserve_vcc 1
		.amdhsa_float_round_mode_32 0
		.amdhsa_float_round_mode_16_64 0
		.amdhsa_float_denorm_mode_32 3
		.amdhsa_float_denorm_mode_16_64 3
		.amdhsa_dx10_clamp 1
		.amdhsa_ieee_mode 1
		.amdhsa_fp16_overflow 0
		.amdhsa_workgroup_processor_mode 1
		.amdhsa_memory_ordered 1
		.amdhsa_forward_progress 0
		.amdhsa_shared_vgpr_count 0
		.amdhsa_exception_fp_ieee_invalid_op 0
		.amdhsa_exception_fp_denorm_src 0
		.amdhsa_exception_fp_ieee_div_zero 0
		.amdhsa_exception_fp_ieee_overflow 0
		.amdhsa_exception_fp_ieee_underflow 0
		.amdhsa_exception_fp_ieee_inexact 0
		.amdhsa_exception_int_div_zero 0
	.end_amdhsa_kernel
	.section	.text._ZL19rocblas_sbmv_kernelILb0ELi64ELi16EdPKdPdEviiT2_lT3_lllS4_lllS3_lT4_llli,"axG",@progbits,_ZL19rocblas_sbmv_kernelILb0ELi64ELi16EdPKdPdEviiT2_lT3_lllS4_lllS3_lT4_llli,comdat
.Lfunc_end7:
	.size	_ZL19rocblas_sbmv_kernelILb0ELi64ELi16EdPKdPdEviiT2_lT3_lllS4_lllS3_lT4_llli, .Lfunc_end7-_ZL19rocblas_sbmv_kernelILb0ELi64ELi16EdPKdPdEviiT2_lT3_lllS4_lllS3_lT4_llli
                                        ; -- End function
	.section	.AMDGPU.csdata,"",@progbits
; Kernel info:
; codeLenInByte = 1672
; NumSgprs: 40
; NumVgprs: 21
; ScratchSize: 0
; MemoryBound: 1
; FloatMode: 240
; IeeeMode: 1
; LDSByteSize: 8192 bytes/workgroup (compile time only)
; SGPRBlocks: 4
; VGPRBlocks: 2
; NumSGPRsForWavesPerEU: 40
; NumVGPRsForWavesPerEU: 21
; Occupancy: 16
; WaveLimiterHint : 1
; COMPUTE_PGM_RSRC2:SCRATCH_EN: 0
; COMPUTE_PGM_RSRC2:USER_SGPR: 14
; COMPUTE_PGM_RSRC2:TRAP_HANDLER: 0
; COMPUTE_PGM_RSRC2:TGID_X_EN: 1
; COMPUTE_PGM_RSRC2:TGID_Y_EN: 0
; COMPUTE_PGM_RSRC2:TGID_Z_EN: 1
; COMPUTE_PGM_RSRC2:TIDIG_COMP_CNT: 1
	.section	.text._ZL19rocblas_sbmv_kernelILb1ELi64ELi16EPKfPKS1_PKPfEviiT2_lT3_lllS8_lllS7_lT4_llli,"axG",@progbits,_ZL19rocblas_sbmv_kernelILb1ELi64ELi16EPKfPKS1_PKPfEviiT2_lT3_lllS8_lllS7_lT4_llli,comdat
	.globl	_ZL19rocblas_sbmv_kernelILb1ELi64ELi16EPKfPKS1_PKPfEviiT2_lT3_lllS8_lllS7_lT4_llli ; -- Begin function _ZL19rocblas_sbmv_kernelILb1ELi64ELi16EPKfPKS1_PKPfEviiT2_lT3_lllS8_lllS7_lT4_llli
	.p2align	8
	.type	_ZL19rocblas_sbmv_kernelILb1ELi64ELi16EPKfPKS1_PKPfEviiT2_lT3_lllS8_lllS7_lT4_llli,@function
_ZL19rocblas_sbmv_kernelILb1ELi64ELi16EPKfPKS1_PKPfEviiT2_lT3_lllS8_lllS7_lT4_llli: ; @_ZL19rocblas_sbmv_kernelILb1ELi64ELi16EPKfPKS1_PKPfEviiT2_lT3_lllS8_lllS7_lT4_llli
; %bb.0:
	s_load_b64 s[2:3], s[0:1], 0x9c
	s_waitcnt lgkmcnt(0)
	s_lshr_b32 s4, s2, 16
	s_and_b32 s29, s2, 0xffff
	s_and_b32 s2, s3, 0xffff
	s_mul_i32 s3, s4, s29
	s_delay_alu instid0(SALU_CYCLE_1) | instskip(NEXT) | instid1(SALU_CYCLE_1)
	s_mul_i32 s3, s3, s2
	s_cmpk_lg_i32 s3, 0x400
	s_cbranch_scc1 .LBB8_36
; %bb.1:
	s_clause 0x1
	s_load_b256 s[16:23], s[0:1], 0x8
	s_load_b256 s[4:11], s[0:1], 0x58
	s_mov_b32 s26, s15
	s_mov_b32 s27, 0
	s_waitcnt lgkmcnt(0)
	s_mul_i32 s3, s15, s19
	s_mul_hi_u32 s12, s15, s18
	s_mul_i32 s2, s15, s18
	s_add_i32 s3, s12, s3
	s_mul_i32 s7, s15, s7
	s_lshl_b64 s[2:3], s[2:3], 2
	s_mul_hi_u32 s12, s15, s6
	s_add_u32 s2, s16, s2
	s_addc_u32 s3, s17, s3
	s_add_i32 s7, s12, s7
	s_mul_i32 s6, s15, s6
	s_delay_alu instid0(SALU_CYCLE_1) | instskip(NEXT) | instid1(SALU_CYCLE_1)
	s_lshl_b64 s[6:7], s[6:7], 2
	s_add_u32 s4, s4, s6
	s_addc_u32 s5, s5, s7
	s_load_b32 s28, s[2:3], 0x0
	s_load_b32 s15, s[4:5], 0x0
	s_waitcnt lgkmcnt(0)
	v_cmp_eq_f32_e64 s30, s28, 0
	v_cmp_eq_f32_e64 s2, s15, 1.0
	s_delay_alu instid0(VALU_DEP_1) | instskip(NEXT) | instid1(SALU_CYCLE_1)
	s_and_b32 s2, s30, s2
	s_and_b32 vcc_lo, exec_lo, s2
	s_cbranch_vccnz .LBB8_36
; %bb.2:
	s_clause 0x1
	s_load_b64 s[18:19], s[0:1], 0x28
	s_load_b64 s[2:3], s[0:1], 0x78
	v_cmp_neq_f32_e64 s31, s28, 0
	s_mov_b64 s[12:13], 0
	s_and_b32 vcc_lo, exec_lo, s30
	s_mov_b64 s[24:25], 0
	s_cbranch_vccnz .LBB8_4
; %bb.3:
	s_lshl_b64 s[4:5], s[26:27], 3
	s_delay_alu instid0(SALU_CYCLE_1)
	s_add_u32 s4, s20, s4
	s_addc_u32 s5, s21, s5
	s_lshl_b64 s[6:7], s[22:23], 2
	s_load_b64 s[4:5], s[4:5], 0x0
	s_waitcnt lgkmcnt(0)
	s_add_u32 s24, s4, s6
	s_addc_u32 s25, s5, s7
.LBB8_4:
	s_clause 0x1
	s_load_b128 s[4:7], s[0:1], 0x38
	s_load_b64 s[16:17], s[0:1], 0x48
	s_and_not1_b32 vcc_lo, exec_lo, s31
	s_cbranch_vccnz .LBB8_6
; %bb.5:
	s_lshl_b64 s[12:13], s[26:27], 3
	s_waitcnt lgkmcnt(0)
	s_add_u32 s4, s4, s12
	s_addc_u32 s5, s5, s13
	s_lshl_b64 s[6:7], s[6:7], 2
	s_load_b64 s[4:5], s[4:5], 0x0
	s_waitcnt lgkmcnt(0)
	s_add_u32 s12, s4, s6
	s_addc_u32 s13, s5, s7
.LBB8_6:
	s_waitcnt lgkmcnt(0)
	s_lshl_b64 s[4:5], s[26:27], 3
	v_and_b32_e32 v1, 0x3ff, v0
	s_add_u32 s4, s8, s4
	s_addc_u32 s5, s9, s5
	v_bfe_u32 v0, v0, 10, 10
	s_load_b64 s[6:7], s[4:5], 0x0
	s_load_b64 s[4:5], s[0:1], 0x0
	s_lshl_b64 s[8:9], s[10:11], 2
	s_delay_alu instid0(VALU_DEP_1) | instskip(NEXT) | instid1(VALU_DEP_1)
	v_mad_u32_u24 v10, v0, s29, v1
	v_cmp_gt_u32_e64 s0, 64, v10
	s_waitcnt lgkmcnt(0)
	s_add_u32 s8, s6, s8
	s_addc_u32 s9, s7, s9
	s_and_not1_b32 vcc_lo, exec_lo, s30
	s_cbranch_vccnz .LBB8_11
; %bb.7:
	v_lshl_add_u32 v3, s14, 6, v10
	s_mov_b32 s1, 0
	s_mov_b32 s10, 0
                                        ; implicit-def: $vgpr2
                                        ; implicit-def: $vgpr0_vgpr1
	s_delay_alu instid0(VALU_DEP_1) | instskip(SKIP_1) | instid1(SALU_CYCLE_1)
	v_cmp_gt_i32_e32 vcc_lo, s4, v3
	s_and_b32 s6, s0, vcc_lo
	s_and_saveexec_b32 s0, s6
	s_cbranch_execz .LBB8_12
; %bb.8:
	v_ashrrev_i32_e32 v2, 31, v3
	v_mul_lo_u32 v4, v3, s3
	v_mad_u64_u32 v[0:1], null, v3, s2, 0
	v_cmp_eq_f32_e64 s6, s15, 0
	s_delay_alu instid0(VALU_DEP_4) | instskip(NEXT) | instid1(VALU_DEP_2)
	v_mul_lo_u32 v2, v2, s2
	s_and_b32 vcc_lo, exec_lo, s6
	s_delay_alu instid0(VALU_DEP_1)
	v_add3_u32 v1, v1, v4, v2
	v_mov_b32_e32 v2, 0
	s_cbranch_vccnz .LBB8_10
; %bb.9:
	s_delay_alu instid0(VALU_DEP_2) | instskip(NEXT) | instid1(VALU_DEP_1)
	v_lshlrev_b64 v[2:3], 2, v[0:1]
	v_add_co_u32 v2, vcc_lo, s8, v2
	s_delay_alu instid0(VALU_DEP_2)
	v_add_co_ci_u32_e32 v3, vcc_lo, s9, v3, vcc_lo
	global_load_b32 v2, v[2:3], off
	s_waitcnt vmcnt(0)
	v_mul_f32_e32 v2, s15, v2
.LBB8_10:
	s_mov_b32 s10, exec_lo
	s_or_b32 exec_lo, exec_lo, s0
	s_delay_alu instid0(SALU_CYCLE_1)
	s_and_b32 vcc_lo, exec_lo, s1
	s_cbranch_vccnz .LBB8_13
	s_branch .LBB8_34
.LBB8_11:
	s_mov_b32 s10, 0
                                        ; implicit-def: $vgpr2
                                        ; implicit-def: $vgpr0_vgpr1
	s_cbranch_execnz .LBB8_13
	s_branch .LBB8_34
.LBB8_12:
	s_or_b32 exec_lo, exec_lo, s0
	s_delay_alu instid0(SALU_CYCLE_1)
	s_and_b32 vcc_lo, exec_lo, s1
	s_cbranch_vccz .LBB8_34
.LBB8_13:
	v_lshrrev_b32_e32 v0, 6, v10
	v_mov_b32_e32 v12, 0
	s_lshl_b32 s11, s14, 6
	s_mov_b32 s14, exec_lo
	s_delay_alu instid0(VALU_DEP_2)
	v_cmpx_gt_i32_e64 s4, v0
	s_cbranch_execz .LBB8_29
; %bb.14:
	v_mad_u64_u32 v[6:7], null, s18, v0, 0
	v_and_b32_e32 v2, 63, v10
	s_ashr_i32 s0, s11, 31
	v_mov_b32_e32 v3, 0
	s_mul_i32 s0, s0, s18
	s_mov_b32 s20, 0
	s_lshl_b64 s[6:7], s[18:19], 6
	s_delay_alu instid0(VALU_DEP_3) | instskip(SKIP_2) | instid1(VALU_DEP_3)
	v_mov_b32_e32 v1, v7
	v_or_b32_e32 v11, s11, v2
	v_sub_nc_u32_e32 v12, s5, v2
	v_mad_u64_u32 v[7:8], null, s19, v0, v[1:2]
	s_delay_alu instid0(VALU_DEP_3)
	v_mul_lo_u32 v9, v11, s19
	v_mad_u64_u32 v[4:5], null, v11, s18, 0
	v_mov_b32_e32 v1, v3
	v_add3_u32 v2, s5, s11, v2
	v_cmp_gt_i32_e32 vcc_lo, s4, v11
	v_lshlrev_b64 v[6:7], 2, v[6:7]
	v_subrev_nc_u32_e32 v13, s11, v12
	v_add3_u32 v5, v5, v9, s0
	v_sub_nc_u32_e32 v2, v2, v0
	s_delay_alu instid0(VALU_DEP_2) | instskip(SKIP_2) | instid1(VALU_DEP_3)
	v_lshlrev_b64 v[8:9], 2, v[4:5]
	v_dual_mov_b32 v5, v1 :: v_dual_mov_b32 v4, v0
	v_mov_b32_e32 v12, v3
	v_add_co_u32 v14, s0, s24, v8
	s_delay_alu instid0(VALU_DEP_1) | instskip(SKIP_1) | instid1(VALU_DEP_1)
	v_add_co_ci_u32_e64 v15, s0, s25, v9, s0
	v_add_co_u32 v16, s0, s24, v6
	v_add_co_ci_u32_e64 v17, s0, s25, v7, s0
	s_branch .LBB8_17
.LBB8_15:                               ;   in Loop: Header=BB8_17 Depth=1
	s_or_b32 exec_lo, exec_lo, s1
.LBB8_16:                               ;   in Loop: Header=BB8_17 Depth=1
	s_delay_alu instid0(SALU_CYCLE_1) | instskip(SKIP_1) | instid1(VALU_DEP_1)
	s_or_b32 exec_lo, exec_lo, s18
	v_add_co_u32 v4, s0, v4, 16
	v_add_co_ci_u32_e64 v5, s0, 0, v5, s0
	v_add_co_u32 v16, s1, v16, s6
	s_delay_alu instid0(VALU_DEP_3) | instskip(SKIP_3) | instid1(VALU_DEP_4)
	v_cmp_le_i32_e64 s0, s4, v4
	v_add_nc_u32_e32 v0, 16, v0
	v_add_co_ci_u32_e64 v17, s1, s7, v17, s1
	v_add_nc_u32_e32 v2, -16, v2
	s_or_b32 s20, s0, s20
	s_delay_alu instid0(SALU_CYCLE_1)
	s_and_not1_b32 exec_lo, exec_lo, s20
	s_cbranch_execz .LBB8_28
.LBB8_17:                               ; =>This Inner Loop Header: Depth=1
	s_and_saveexec_b32 s18, vcc_lo
	s_cbranch_execz .LBB8_16
; %bb.18:                               ;   in Loop: Header=BB8_17 Depth=1
	s_mov_b32 s19, 0
                                        ; implicit-def: $vgpr6_vgpr7
                                        ; implicit-def: $vgpr8_vgpr9
	s_mov_b32 s1, exec_lo
	v_cmpx_ge_i32_e64 v4, v11
	s_xor_b32 s21, exec_lo, s1
	s_cbranch_execnz .LBB8_21
; %bb.19:                               ;   in Loop: Header=BB8_17 Depth=1
	s_and_not1_saveexec_b32 s21, s21
	s_cbranch_execnz .LBB8_24
.LBB8_20:                               ;   in Loop: Header=BB8_17 Depth=1
	s_or_b32 exec_lo, exec_lo, s21
	s_and_saveexec_b32 s1, s19
	s_cbranch_execz .LBB8_15
	s_branch .LBB8_27
.LBB8_21:                               ;   in Loop: Header=BB8_17 Depth=1
	v_cmp_ge_i32_e64 s0, s5, v2
	v_cmp_lt_i32_e64 s1, -1, v2
                                        ; implicit-def: $vgpr6_vgpr7
                                        ; implicit-def: $vgpr8_vgpr9
	s_delay_alu instid0(VALU_DEP_1) | instskip(SKIP_2) | instid1(SALU_CYCLE_1)
	s_and_b32 s0, s0, s1
	s_mov_b32 s1, 0
	s_and_saveexec_b32 s19, s0
	s_xor_b32 s19, exec_lo, s19
; %bb.22:                               ;   in Loop: Header=BB8_17 Depth=1
	v_lshlrev_b64 v[6:7], 2, v[2:3]
	v_mov_b32_e32 v1, v3
	s_mov_b32 s1, exec_lo
	s_delay_alu instid0(VALU_DEP_1) | instskip(NEXT) | instid1(VALU_DEP_3)
	v_dual_mov_b32 v9, v1 :: v_dual_mov_b32 v8, v0
	v_add_co_u32 v6, s0, v16, v6
	s_delay_alu instid0(VALU_DEP_1)
	v_add_co_ci_u32_e64 v7, s0, v17, v7, s0
; %bb.23:                               ;   in Loop: Header=BB8_17 Depth=1
	s_or_b32 exec_lo, exec_lo, s19
	s_delay_alu instid0(SALU_CYCLE_1)
	s_and_b32 s19, s1, exec_lo
	s_and_not1_saveexec_b32 s21, s21
	s_cbranch_execz .LBB8_20
.LBB8_24:                               ;   in Loop: Header=BB8_17 Depth=1
	v_add_nc_u32_e32 v8, v13, v4
                                        ; implicit-def: $vgpr6_vgpr7
	s_delay_alu instid0(VALU_DEP_1) | instskip(SKIP_1) | instid1(VALU_DEP_1)
	v_cmp_ge_i32_e64 s0, s5, v8
	v_cmp_lt_i32_e64 s1, -1, v8
	s_and_b32 s22, s0, s1
	s_mov_b32 s0, s19
	s_and_saveexec_b32 s1, s22
; %bb.25:                               ;   in Loop: Header=BB8_17 Depth=1
	v_mov_b32_e32 v9, v3
	s_delay_alu instid0(VALU_DEP_1) | instskip(NEXT) | instid1(VALU_DEP_1)
	v_lshlrev_b64 v[6:7], 2, v[8:9]
	v_add_co_u32 v6, s0, v14, v6
	s_delay_alu instid0(VALU_DEP_1)
	v_add_co_ci_u32_e64 v7, s0, v15, v7, s0
	s_or_b32 s0, s19, exec_lo
; %bb.26:                               ;   in Loop: Header=BB8_17 Depth=1
	s_or_b32 exec_lo, exec_lo, s1
	v_dual_mov_b32 v9, v5 :: v_dual_mov_b32 v8, v4
	s_and_not1_b32 s1, s19, exec_lo
	s_and_b32 s0, s0, exec_lo
	s_delay_alu instid0(SALU_CYCLE_1)
	s_or_b32 s19, s1, s0
	s_or_b32 exec_lo, exec_lo, s21
	s_and_saveexec_b32 s1, s19
	s_cbranch_execz .LBB8_15
.LBB8_27:                               ;   in Loop: Header=BB8_17 Depth=1
	v_mul_lo_u32 v1, v9, s16
	v_mul_lo_u32 v9, v8, s17
	v_mad_u64_u32 v[18:19], null, v8, s16, 0
	s_delay_alu instid0(VALU_DEP_1) | instskip(NEXT) | instid1(VALU_DEP_1)
	v_add3_u32 v19, v19, v9, v1
	v_lshlrev_b64 v[8:9], 2, v[18:19]
	s_delay_alu instid0(VALU_DEP_1) | instskip(NEXT) | instid1(VALU_DEP_1)
	v_add_co_u32 v8, s0, s12, v8
	v_add_co_ci_u32_e64 v9, s0, s13, v9, s0
	flat_load_b32 v1, v[6:7]
	flat_load_b32 v6, v[8:9]
	s_waitcnt vmcnt(0) lgkmcnt(0)
	v_fmac_f32_e32 v12, v1, v6
	s_branch .LBB8_15
.LBB8_28:
	s_or_b32 exec_lo, exec_lo, s20
.LBB8_29:
	s_delay_alu instid0(SALU_CYCLE_1) | instskip(SKIP_3) | instid1(VALU_DEP_3)
	s_or_b32 exec_lo, exec_lo, s14
	v_add_nc_u32_e32 v4, s11, v10
	v_cmp_gt_u32_e32 vcc_lo, 64, v10
	v_lshlrev_b32_e32 v3, 2, v10
                                        ; implicit-def: $vgpr2
                                        ; implicit-def: $vgpr0_vgpr1
	v_cmp_gt_i32_e64 s0, s4, v4
	ds_store_b32 v3, v12
	s_waitcnt lgkmcnt(0)
	s_barrier
	s_and_b32 s1, vcc_lo, s0
	buffer_gl0_inv
	s_and_saveexec_b32 s0, s1
	s_cbranch_execz .LBB8_33
; %bb.30:
	ds_load_2addr_stride64_b32 v[0:1], v3 offset1:1
	ds_load_2addr_stride64_b32 v[5:6], v3 offset0:2 offset1:3
	ds_load_2addr_stride64_b32 v[7:8], v3 offset0:4 offset1:5
	;; [unrolled: 1-line block ×3, first 2 shown]
	v_cmp_eq_f32_e64 s1, s15, 0
	s_delay_alu instid0(VALU_DEP_1) | instskip(SKIP_3) | instid1(VALU_DEP_1)
	s_and_b32 vcc_lo, exec_lo, s1
	s_waitcnt lgkmcnt(3)
	v_add_f32_e32 v0, v0, v1
	s_waitcnt lgkmcnt(2)
	v_add_f32_e32 v0, v5, v0
	s_delay_alu instid0(VALU_DEP_1)
	v_add_f32_e32 v0, v6, v0
	ds_load_2addr_stride64_b32 v[5:6], v3 offset0:10 offset1:11
	s_waitcnt lgkmcnt(2)
	v_add_f32_e32 v2, v7, v0
	ds_load_2addr_stride64_b32 v[0:1], v3 offset0:8 offset1:9
	v_add_f32_e32 v2, v8, v2
	s_waitcnt lgkmcnt(2)
	s_delay_alu instid0(VALU_DEP_1) | instskip(NEXT) | instid1(VALU_DEP_1)
	v_add_f32_e32 v2, v9, v2
	v_add_f32_e32 v2, v10, v2
	ds_load_2addr_stride64_b32 v[7:8], v3 offset0:12 offset1:13
	ds_load_2addr_stride64_b32 v[9:10], v3 offset0:14 offset1:15
	s_waitcnt lgkmcnt(2)
	v_add_f32_e32 v0, v0, v2
	s_delay_alu instid0(VALU_DEP_1) | instskip(NEXT) | instid1(VALU_DEP_1)
	v_add_f32_e32 v0, v1, v0
	v_add_f32_e32 v0, v5, v0
	v_ashrrev_i32_e32 v5, 31, v4
	s_delay_alu instid0(VALU_DEP_2) | instskip(SKIP_2) | instid1(VALU_DEP_2)
	v_add_f32_e32 v0, v6, v0
	v_mul_lo_u32 v6, v4, s3
	s_waitcnt lgkmcnt(1)
	v_add_f32_e32 v0, v7, v0
	s_delay_alu instid0(VALU_DEP_1) | instskip(SKIP_3) | instid1(VALU_DEP_3)
	v_add_f32_e32 v2, v8, v0
	v_mad_u64_u32 v[0:1], null, v4, s2, 0
	v_mul_lo_u32 v4, v5, s2
	s_waitcnt lgkmcnt(0)
	v_add_f32_e32 v2, v9, v2
	s_delay_alu instid0(VALU_DEP_1) | instskip(NEXT) | instid1(VALU_DEP_3)
	v_add_f32_e32 v5, v10, v2
	v_add3_u32 v1, v1, v6, v4
	s_delay_alu instid0(VALU_DEP_2)
	v_mul_f32_e32 v2, s28, v5
	ds_store_b32 v3, v5
	s_cbranch_vccnz .LBB8_32
; %bb.31:
	v_lshlrev_b64 v[3:4], 2, v[0:1]
	s_delay_alu instid0(VALU_DEP_1) | instskip(NEXT) | instid1(VALU_DEP_2)
	v_add_co_u32 v3, vcc_lo, s8, v3
	v_add_co_ci_u32_e32 v4, vcc_lo, s9, v4, vcc_lo
	global_load_b32 v3, v[3:4], off
	s_waitcnt vmcnt(0)
	v_fmac_f32_e32 v2, s15, v3
.LBB8_32:
	s_or_b32 s10, s10, exec_lo
.LBB8_33:
	s_or_b32 exec_lo, exec_lo, s0
.LBB8_34:
	s_and_saveexec_b32 s0, s10
	s_cbranch_execz .LBB8_36
; %bb.35:
	v_lshlrev_b64 v[0:1], 2, v[0:1]
	s_delay_alu instid0(VALU_DEP_1) | instskip(NEXT) | instid1(VALU_DEP_2)
	v_add_co_u32 v0, vcc_lo, s8, v0
	v_add_co_ci_u32_e32 v1, vcc_lo, s9, v1, vcc_lo
	global_store_b32 v[0:1], v2, off
.LBB8_36:
	s_nop 0
	s_sendmsg sendmsg(MSG_DEALLOC_VGPRS)
	s_endpgm
	.section	.rodata,"a",@progbits
	.p2align	6, 0x0
	.amdhsa_kernel _ZL19rocblas_sbmv_kernelILb1ELi64ELi16EPKfPKS1_PKPfEviiT2_lT3_lllS8_lllS7_lT4_llli
		.amdhsa_group_segment_fixed_size 4096
		.amdhsa_private_segment_fixed_size 0
		.amdhsa_kernarg_size 400
		.amdhsa_user_sgpr_count 14
		.amdhsa_user_sgpr_dispatch_ptr 0
		.amdhsa_user_sgpr_queue_ptr 0
		.amdhsa_user_sgpr_kernarg_segment_ptr 1
		.amdhsa_user_sgpr_dispatch_id 0
		.amdhsa_user_sgpr_private_segment_size 0
		.amdhsa_wavefront_size32 1
		.amdhsa_uses_dynamic_stack 0
		.amdhsa_enable_private_segment 0
		.amdhsa_system_sgpr_workgroup_id_x 1
		.amdhsa_system_sgpr_workgroup_id_y 0
		.amdhsa_system_sgpr_workgroup_id_z 1
		.amdhsa_system_sgpr_workgroup_info 0
		.amdhsa_system_vgpr_workitem_id 1
		.amdhsa_next_free_vgpr 20
		.amdhsa_next_free_sgpr 32
		.amdhsa_reserve_vcc 1
		.amdhsa_float_round_mode_32 0
		.amdhsa_float_round_mode_16_64 0
		.amdhsa_float_denorm_mode_32 3
		.amdhsa_float_denorm_mode_16_64 3
		.amdhsa_dx10_clamp 1
		.amdhsa_ieee_mode 1
		.amdhsa_fp16_overflow 0
		.amdhsa_workgroup_processor_mode 1
		.amdhsa_memory_ordered 1
		.amdhsa_forward_progress 0
		.amdhsa_shared_vgpr_count 0
		.amdhsa_exception_fp_ieee_invalid_op 0
		.amdhsa_exception_fp_denorm_src 0
		.amdhsa_exception_fp_ieee_div_zero 0
		.amdhsa_exception_fp_ieee_overflow 0
		.amdhsa_exception_fp_ieee_underflow 0
		.amdhsa_exception_fp_ieee_inexact 0
		.amdhsa_exception_int_div_zero 0
	.end_amdhsa_kernel
	.section	.text._ZL19rocblas_sbmv_kernelILb1ELi64ELi16EPKfPKS1_PKPfEviiT2_lT3_lllS8_lllS7_lT4_llli,"axG",@progbits,_ZL19rocblas_sbmv_kernelILb1ELi64ELi16EPKfPKS1_PKPfEviiT2_lT3_lllS8_lllS7_lT4_llli,comdat
.Lfunc_end8:
	.size	_ZL19rocblas_sbmv_kernelILb1ELi64ELi16EPKfPKS1_PKPfEviiT2_lT3_lllS8_lllS7_lT4_llli, .Lfunc_end8-_ZL19rocblas_sbmv_kernelILb1ELi64ELi16EPKfPKS1_PKPfEviiT2_lT3_lllS8_lllS7_lT4_llli
                                        ; -- End function
	.section	.AMDGPU.csdata,"",@progbits
; Kernel info:
; codeLenInByte = 1712
; NumSgprs: 34
; NumVgprs: 20
; ScratchSize: 0
; MemoryBound: 0
; FloatMode: 240
; IeeeMode: 1
; LDSByteSize: 4096 bytes/workgroup (compile time only)
; SGPRBlocks: 4
; VGPRBlocks: 2
; NumSGPRsForWavesPerEU: 34
; NumVGPRsForWavesPerEU: 20
; Occupancy: 16
; WaveLimiterHint : 1
; COMPUTE_PGM_RSRC2:SCRATCH_EN: 0
; COMPUTE_PGM_RSRC2:USER_SGPR: 14
; COMPUTE_PGM_RSRC2:TRAP_HANDLER: 0
; COMPUTE_PGM_RSRC2:TGID_X_EN: 1
; COMPUTE_PGM_RSRC2:TGID_Y_EN: 0
; COMPUTE_PGM_RSRC2:TGID_Z_EN: 1
; COMPUTE_PGM_RSRC2:TIDIG_COMP_CNT: 1
	.section	.text._ZL19rocblas_sbmv_kernelILb0ELi64ELi16EPKfPKS1_PKPfEviiT2_lT3_lllS8_lllS7_lT4_llli,"axG",@progbits,_ZL19rocblas_sbmv_kernelILb0ELi64ELi16EPKfPKS1_PKPfEviiT2_lT3_lllS8_lllS7_lT4_llli,comdat
	.globl	_ZL19rocblas_sbmv_kernelILb0ELi64ELi16EPKfPKS1_PKPfEviiT2_lT3_lllS8_lllS7_lT4_llli ; -- Begin function _ZL19rocblas_sbmv_kernelILb0ELi64ELi16EPKfPKS1_PKPfEviiT2_lT3_lllS8_lllS7_lT4_llli
	.p2align	8
	.type	_ZL19rocblas_sbmv_kernelILb0ELi64ELi16EPKfPKS1_PKPfEviiT2_lT3_lllS8_lllS7_lT4_llli,@function
_ZL19rocblas_sbmv_kernelILb0ELi64ELi16EPKfPKS1_PKPfEviiT2_lT3_lllS8_lllS7_lT4_llli: ; @_ZL19rocblas_sbmv_kernelILb0ELi64ELi16EPKfPKS1_PKPfEviiT2_lT3_lllS8_lllS7_lT4_llli
; %bb.0:
	s_load_b64 s[2:3], s[0:1], 0x9c
	s_waitcnt lgkmcnt(0)
	s_lshr_b32 s4, s2, 16
	s_and_b32 s29, s2, 0xffff
	s_and_b32 s2, s3, 0xffff
	s_mul_i32 s3, s4, s29
	s_delay_alu instid0(SALU_CYCLE_1) | instskip(NEXT) | instid1(SALU_CYCLE_1)
	s_mul_i32 s3, s3, s2
	s_cmpk_lg_i32 s3, 0x400
	s_cbranch_scc1 .LBB9_36
; %bb.1:
	s_clause 0x1
	s_load_b256 s[16:23], s[0:1], 0x8
	s_load_b256 s[4:11], s[0:1], 0x58
	s_mov_b32 s26, s15
	s_mov_b32 s27, 0
	s_waitcnt lgkmcnt(0)
	s_mul_i32 s3, s15, s19
	s_mul_hi_u32 s12, s15, s18
	s_mul_i32 s2, s15, s18
	s_add_i32 s3, s12, s3
	s_mul_i32 s7, s15, s7
	s_lshl_b64 s[2:3], s[2:3], 2
	s_mul_hi_u32 s12, s15, s6
	s_add_u32 s2, s16, s2
	s_addc_u32 s3, s17, s3
	s_add_i32 s7, s12, s7
	s_mul_i32 s6, s15, s6
	s_delay_alu instid0(SALU_CYCLE_1) | instskip(NEXT) | instid1(SALU_CYCLE_1)
	s_lshl_b64 s[6:7], s[6:7], 2
	s_add_u32 s4, s4, s6
	s_addc_u32 s5, s5, s7
	s_load_b32 s28, s[2:3], 0x0
	s_load_b32 s15, s[4:5], 0x0
	s_waitcnt lgkmcnt(0)
	v_cmp_eq_f32_e64 s30, s28, 0
	v_cmp_eq_f32_e64 s2, s15, 1.0
	s_delay_alu instid0(VALU_DEP_1) | instskip(NEXT) | instid1(SALU_CYCLE_1)
	s_and_b32 s2, s30, s2
	s_and_b32 vcc_lo, exec_lo, s2
	s_cbranch_vccnz .LBB9_36
; %bb.2:
	s_clause 0x1
	s_load_b64 s[18:19], s[0:1], 0x28
	s_load_b64 s[2:3], s[0:1], 0x78
	v_cmp_neq_f32_e64 s31, s28, 0
	s_mov_b64 s[12:13], 0
	s_and_b32 vcc_lo, exec_lo, s30
	s_mov_b64 s[24:25], 0
	s_cbranch_vccnz .LBB9_4
; %bb.3:
	s_lshl_b64 s[4:5], s[26:27], 3
	s_delay_alu instid0(SALU_CYCLE_1)
	s_add_u32 s4, s20, s4
	s_addc_u32 s5, s21, s5
	s_lshl_b64 s[6:7], s[22:23], 2
	s_load_b64 s[4:5], s[4:5], 0x0
	s_waitcnt lgkmcnt(0)
	s_add_u32 s24, s4, s6
	s_addc_u32 s25, s5, s7
.LBB9_4:
	s_clause 0x1
	s_load_b128 s[4:7], s[0:1], 0x38
	s_load_b64 s[16:17], s[0:1], 0x48
	s_and_not1_b32 vcc_lo, exec_lo, s31
	s_cbranch_vccnz .LBB9_6
; %bb.5:
	s_lshl_b64 s[12:13], s[26:27], 3
	s_waitcnt lgkmcnt(0)
	s_add_u32 s4, s4, s12
	s_addc_u32 s5, s5, s13
	s_lshl_b64 s[6:7], s[6:7], 2
	s_load_b64 s[4:5], s[4:5], 0x0
	s_waitcnt lgkmcnt(0)
	s_add_u32 s12, s4, s6
	s_addc_u32 s13, s5, s7
.LBB9_6:
	s_waitcnt lgkmcnt(0)
	s_lshl_b64 s[4:5], s[26:27], 3
	v_and_b32_e32 v1, 0x3ff, v0
	s_add_u32 s4, s8, s4
	s_addc_u32 s5, s9, s5
	v_bfe_u32 v0, v0, 10, 10
	s_load_b64 s[6:7], s[4:5], 0x0
	s_load_b64 s[4:5], s[0:1], 0x0
	s_lshl_b64 s[8:9], s[10:11], 2
	s_delay_alu instid0(VALU_DEP_1) | instskip(NEXT) | instid1(VALU_DEP_1)
	v_mad_u32_u24 v10, v0, s29, v1
	v_cmp_gt_u32_e64 s0, 64, v10
	s_waitcnt lgkmcnt(0)
	s_add_u32 s8, s6, s8
	s_addc_u32 s9, s7, s9
	s_and_not1_b32 vcc_lo, exec_lo, s30
	s_cbranch_vccnz .LBB9_11
; %bb.7:
	v_lshl_add_u32 v3, s14, 6, v10
	s_mov_b32 s1, 0
	s_mov_b32 s10, 0
                                        ; implicit-def: $vgpr2
                                        ; implicit-def: $vgpr0_vgpr1
	s_delay_alu instid0(VALU_DEP_1) | instskip(SKIP_1) | instid1(SALU_CYCLE_1)
	v_cmp_gt_i32_e32 vcc_lo, s4, v3
	s_and_b32 s6, s0, vcc_lo
	s_and_saveexec_b32 s0, s6
	s_cbranch_execz .LBB9_12
; %bb.8:
	v_ashrrev_i32_e32 v2, 31, v3
	v_mul_lo_u32 v4, v3, s3
	v_mad_u64_u32 v[0:1], null, v3, s2, 0
	v_cmp_eq_f32_e64 s6, s15, 0
	s_delay_alu instid0(VALU_DEP_4) | instskip(NEXT) | instid1(VALU_DEP_2)
	v_mul_lo_u32 v2, v2, s2
	s_and_b32 vcc_lo, exec_lo, s6
	s_delay_alu instid0(VALU_DEP_1)
	v_add3_u32 v1, v1, v4, v2
	v_mov_b32_e32 v2, 0
	s_cbranch_vccnz .LBB9_10
; %bb.9:
	s_delay_alu instid0(VALU_DEP_2) | instskip(NEXT) | instid1(VALU_DEP_1)
	v_lshlrev_b64 v[2:3], 2, v[0:1]
	v_add_co_u32 v2, vcc_lo, s8, v2
	s_delay_alu instid0(VALU_DEP_2)
	v_add_co_ci_u32_e32 v3, vcc_lo, s9, v3, vcc_lo
	global_load_b32 v2, v[2:3], off
	s_waitcnt vmcnt(0)
	v_mul_f32_e32 v2, s15, v2
.LBB9_10:
	s_mov_b32 s10, exec_lo
	s_or_b32 exec_lo, exec_lo, s0
	s_delay_alu instid0(SALU_CYCLE_1)
	s_and_b32 vcc_lo, exec_lo, s1
	s_cbranch_vccnz .LBB9_13
	s_branch .LBB9_34
.LBB9_11:
	s_mov_b32 s10, 0
                                        ; implicit-def: $vgpr2
                                        ; implicit-def: $vgpr0_vgpr1
	s_cbranch_execnz .LBB9_13
	s_branch .LBB9_34
.LBB9_12:
	s_or_b32 exec_lo, exec_lo, s0
	s_delay_alu instid0(SALU_CYCLE_1)
	s_and_b32 vcc_lo, exec_lo, s1
	s_cbranch_vccz .LBB9_34
.LBB9_13:
	v_lshrrev_b32_e32 v0, 6, v10
	v_mov_b32_e32 v12, 0
	s_lshl_b32 s11, s14, 6
	s_mov_b32 s14, exec_lo
	s_delay_alu instid0(VALU_DEP_2)
	v_cmpx_gt_i32_e64 s4, v0
	s_cbranch_execz .LBB9_29
; %bb.14:
	v_mad_u64_u32 v[6:7], null, s18, v0, 0
	v_and_b32_e32 v8, 63, v10
	s_ashr_i32 s0, s11, 31
	s_mov_b32 s20, 0
	s_mul_i32 s0, s0, s18
	s_lshl_b64 s[6:7], s[18:19], 6
	s_delay_alu instid0(VALU_DEP_2) | instskip(SKIP_2) | instid1(VALU_DEP_3)
	v_mov_b32_e32 v1, v7
	v_or_b32_e32 v11, s11, v8
	v_add_nc_u32_e32 v12, s11, v8
	v_mad_u64_u32 v[2:3], null, s19, v0, v[1:2]
	s_delay_alu instid0(VALU_DEP_3) | instskip(SKIP_4) | instid1(VALU_DEP_3)
	v_mul_lo_u32 v7, v11, s19
	v_mad_u64_u32 v[4:5], null, v11, s18, 0
	v_mov_b32_e32 v3, 0
	v_cmp_gt_i32_e32 vcc_lo, s4, v11
	v_sub_nc_u32_e32 v13, 0, v12
	v_mov_b32_e32 v1, v3
	v_add3_u32 v5, v5, v7, s0
	v_mov_b32_e32 v7, v2
	v_sub_nc_u32_e32 v2, v12, v0
	v_mov_b32_e32 v12, v3
	s_delay_alu instid0(VALU_DEP_4) | instskip(SKIP_2) | instid1(VALU_DEP_3)
	v_lshlrev_b64 v[8:9], 2, v[4:5]
	v_dual_mov_b32 v5, v1 :: v_dual_mov_b32 v4, v0
	v_lshlrev_b64 v[6:7], 2, v[6:7]
	v_add_co_u32 v14, s0, s24, v8
	s_delay_alu instid0(VALU_DEP_1) | instskip(NEXT) | instid1(VALU_DEP_3)
	v_add_co_ci_u32_e64 v15, s0, s25, v9, s0
	v_add_co_u32 v16, s0, s24, v6
	s_delay_alu instid0(VALU_DEP_1)
	v_add_co_ci_u32_e64 v17, s0, s25, v7, s0
	s_branch .LBB9_17
.LBB9_15:                               ;   in Loop: Header=BB9_17 Depth=1
	s_or_b32 exec_lo, exec_lo, s1
.LBB9_16:                               ;   in Loop: Header=BB9_17 Depth=1
	s_delay_alu instid0(SALU_CYCLE_1) | instskip(SKIP_1) | instid1(VALU_DEP_1)
	s_or_b32 exec_lo, exec_lo, s18
	v_add_co_u32 v4, s0, v4, 16
	v_add_co_ci_u32_e64 v5, s0, 0, v5, s0
	v_add_co_u32 v16, s1, v16, s6
	s_delay_alu instid0(VALU_DEP_3) | instskip(SKIP_3) | instid1(VALU_DEP_4)
	v_cmp_le_i32_e64 s0, s4, v4
	v_add_nc_u32_e32 v0, 16, v0
	v_add_co_ci_u32_e64 v17, s1, s7, v17, s1
	v_add_nc_u32_e32 v2, -16, v2
	s_or_b32 s20, s0, s20
	s_delay_alu instid0(SALU_CYCLE_1)
	s_and_not1_b32 exec_lo, exec_lo, s20
	s_cbranch_execz .LBB9_28
.LBB9_17:                               ; =>This Inner Loop Header: Depth=1
	s_and_saveexec_b32 s18, vcc_lo
	s_cbranch_execz .LBB9_16
; %bb.18:                               ;   in Loop: Header=BB9_17 Depth=1
	s_mov_b32 s19, 0
                                        ; implicit-def: $vgpr6_vgpr7
                                        ; implicit-def: $vgpr8_vgpr9
	s_mov_b32 s1, exec_lo
	v_cmpx_le_i32_e64 v4, v11
	s_xor_b32 s21, exec_lo, s1
	s_cbranch_execnz .LBB9_21
; %bb.19:                               ;   in Loop: Header=BB9_17 Depth=1
	s_and_not1_saveexec_b32 s21, s21
	s_cbranch_execnz .LBB9_24
.LBB9_20:                               ;   in Loop: Header=BB9_17 Depth=1
	s_or_b32 exec_lo, exec_lo, s21
	s_and_saveexec_b32 s1, s19
	s_cbranch_execz .LBB9_15
	s_branch .LBB9_27
.LBB9_21:                               ;   in Loop: Header=BB9_17 Depth=1
	v_cmp_ge_i32_e64 s0, s5, v2
	v_cmp_lt_i32_e64 s1, -1, v2
                                        ; implicit-def: $vgpr6_vgpr7
                                        ; implicit-def: $vgpr8_vgpr9
	s_delay_alu instid0(VALU_DEP_1)
	s_and_b32 s0, s0, s1
	s_mov_b32 s1, 0
	s_and_saveexec_b32 s19, s0
; %bb.22:                               ;   in Loop: Header=BB9_17 Depth=1
	v_lshlrev_b64 v[6:7], 2, v[2:3]
	v_mov_b32_e32 v1, v3
	s_mov_b32 s1, exec_lo
	s_delay_alu instid0(VALU_DEP_1) | instskip(NEXT) | instid1(VALU_DEP_3)
	v_dual_mov_b32 v9, v1 :: v_dual_mov_b32 v8, v0
	v_add_co_u32 v6, s0, v16, v6
	s_delay_alu instid0(VALU_DEP_1)
	v_add_co_ci_u32_e64 v7, s0, v17, v7, s0
; %bb.23:                               ;   in Loop: Header=BB9_17 Depth=1
	s_or_b32 exec_lo, exec_lo, s19
	s_delay_alu instid0(SALU_CYCLE_1)
	s_and_b32 s19, s1, exec_lo
	s_and_not1_saveexec_b32 s21, s21
	s_cbranch_execz .LBB9_20
.LBB9_24:                               ;   in Loop: Header=BB9_17 Depth=1
	v_add_nc_u32_e32 v8, v13, v4
                                        ; implicit-def: $vgpr6_vgpr7
	s_delay_alu instid0(VALU_DEP_1) | instskip(SKIP_1) | instid1(VALU_DEP_1)
	v_cmp_ge_i32_e64 s0, s5, v8
	v_cmp_lt_i32_e64 s1, -1, v8
	s_and_b32 s22, s0, s1
	s_mov_b32 s0, s19
	s_and_saveexec_b32 s1, s22
; %bb.25:                               ;   in Loop: Header=BB9_17 Depth=1
	v_mov_b32_e32 v9, v3
	s_delay_alu instid0(VALU_DEP_1) | instskip(NEXT) | instid1(VALU_DEP_1)
	v_lshlrev_b64 v[6:7], 2, v[8:9]
	v_add_co_u32 v6, s0, v14, v6
	s_delay_alu instid0(VALU_DEP_1)
	v_add_co_ci_u32_e64 v7, s0, v15, v7, s0
	s_or_b32 s0, s19, exec_lo
; %bb.26:                               ;   in Loop: Header=BB9_17 Depth=1
	s_or_b32 exec_lo, exec_lo, s1
	v_dual_mov_b32 v9, v5 :: v_dual_mov_b32 v8, v4
	s_and_not1_b32 s1, s19, exec_lo
	s_and_b32 s0, s0, exec_lo
	s_delay_alu instid0(SALU_CYCLE_1)
	s_or_b32 s19, s1, s0
	s_or_b32 exec_lo, exec_lo, s21
	s_and_saveexec_b32 s1, s19
	s_cbranch_execz .LBB9_15
.LBB9_27:                               ;   in Loop: Header=BB9_17 Depth=1
	v_mul_lo_u32 v1, v9, s16
	v_mul_lo_u32 v9, v8, s17
	v_mad_u64_u32 v[18:19], null, v8, s16, 0
	s_delay_alu instid0(VALU_DEP_1) | instskip(NEXT) | instid1(VALU_DEP_1)
	v_add3_u32 v19, v19, v9, v1
	v_lshlrev_b64 v[8:9], 2, v[18:19]
	s_delay_alu instid0(VALU_DEP_1) | instskip(NEXT) | instid1(VALU_DEP_1)
	v_add_co_u32 v8, s0, s12, v8
	v_add_co_ci_u32_e64 v9, s0, s13, v9, s0
	flat_load_b32 v1, v[6:7]
	flat_load_b32 v6, v[8:9]
	s_waitcnt vmcnt(0) lgkmcnt(0)
	v_fmac_f32_e32 v12, v1, v6
	s_branch .LBB9_15
.LBB9_28:
	s_or_b32 exec_lo, exec_lo, s20
.LBB9_29:
	s_delay_alu instid0(SALU_CYCLE_1) | instskip(SKIP_3) | instid1(VALU_DEP_3)
	s_or_b32 exec_lo, exec_lo, s14
	v_add_nc_u32_e32 v4, s11, v10
	v_cmp_gt_u32_e32 vcc_lo, 64, v10
	v_lshlrev_b32_e32 v3, 2, v10
                                        ; implicit-def: $vgpr2
                                        ; implicit-def: $vgpr0_vgpr1
	v_cmp_gt_i32_e64 s0, s4, v4
	ds_store_b32 v3, v12
	s_waitcnt lgkmcnt(0)
	s_barrier
	s_and_b32 s1, vcc_lo, s0
	buffer_gl0_inv
	s_and_saveexec_b32 s0, s1
	s_cbranch_execz .LBB9_33
; %bb.30:
	ds_load_2addr_stride64_b32 v[0:1], v3 offset1:1
	ds_load_2addr_stride64_b32 v[5:6], v3 offset0:2 offset1:3
	ds_load_2addr_stride64_b32 v[7:8], v3 offset0:4 offset1:5
	;; [unrolled: 1-line block ×3, first 2 shown]
	v_cmp_eq_f32_e64 s1, s15, 0
	s_delay_alu instid0(VALU_DEP_1) | instskip(SKIP_3) | instid1(VALU_DEP_1)
	s_and_b32 vcc_lo, exec_lo, s1
	s_waitcnt lgkmcnt(3)
	v_add_f32_e32 v0, v0, v1
	s_waitcnt lgkmcnt(2)
	v_add_f32_e32 v0, v5, v0
	s_delay_alu instid0(VALU_DEP_1)
	v_add_f32_e32 v0, v6, v0
	ds_load_2addr_stride64_b32 v[5:6], v3 offset0:10 offset1:11
	s_waitcnt lgkmcnt(2)
	v_add_f32_e32 v2, v7, v0
	ds_load_2addr_stride64_b32 v[0:1], v3 offset0:8 offset1:9
	v_add_f32_e32 v2, v8, v2
	s_waitcnt lgkmcnt(2)
	s_delay_alu instid0(VALU_DEP_1) | instskip(NEXT) | instid1(VALU_DEP_1)
	v_add_f32_e32 v2, v9, v2
	v_add_f32_e32 v2, v10, v2
	ds_load_2addr_stride64_b32 v[7:8], v3 offset0:12 offset1:13
	ds_load_2addr_stride64_b32 v[9:10], v3 offset0:14 offset1:15
	s_waitcnt lgkmcnt(2)
	v_add_f32_e32 v0, v0, v2
	s_delay_alu instid0(VALU_DEP_1) | instskip(NEXT) | instid1(VALU_DEP_1)
	v_add_f32_e32 v0, v1, v0
	v_add_f32_e32 v0, v5, v0
	v_ashrrev_i32_e32 v5, 31, v4
	s_delay_alu instid0(VALU_DEP_2) | instskip(SKIP_2) | instid1(VALU_DEP_2)
	v_add_f32_e32 v0, v6, v0
	v_mul_lo_u32 v6, v4, s3
	s_waitcnt lgkmcnt(1)
	v_add_f32_e32 v0, v7, v0
	s_delay_alu instid0(VALU_DEP_1) | instskip(SKIP_3) | instid1(VALU_DEP_3)
	v_add_f32_e32 v2, v8, v0
	v_mad_u64_u32 v[0:1], null, v4, s2, 0
	v_mul_lo_u32 v4, v5, s2
	s_waitcnt lgkmcnt(0)
	v_add_f32_e32 v2, v9, v2
	s_delay_alu instid0(VALU_DEP_1) | instskip(NEXT) | instid1(VALU_DEP_3)
	v_add_f32_e32 v5, v10, v2
	v_add3_u32 v1, v1, v6, v4
	s_delay_alu instid0(VALU_DEP_2)
	v_mul_f32_e32 v2, s28, v5
	ds_store_b32 v3, v5
	s_cbranch_vccnz .LBB9_32
; %bb.31:
	v_lshlrev_b64 v[3:4], 2, v[0:1]
	s_delay_alu instid0(VALU_DEP_1) | instskip(NEXT) | instid1(VALU_DEP_2)
	v_add_co_u32 v3, vcc_lo, s8, v3
	v_add_co_ci_u32_e32 v4, vcc_lo, s9, v4, vcc_lo
	global_load_b32 v3, v[3:4], off
	s_waitcnt vmcnt(0)
	v_fmac_f32_e32 v2, s15, v3
.LBB9_32:
	s_or_b32 s10, s10, exec_lo
.LBB9_33:
	s_or_b32 exec_lo, exec_lo, s0
.LBB9_34:
	s_and_saveexec_b32 s0, s10
	s_cbranch_execz .LBB9_36
; %bb.35:
	v_lshlrev_b64 v[0:1], 2, v[0:1]
	s_delay_alu instid0(VALU_DEP_1) | instskip(NEXT) | instid1(VALU_DEP_2)
	v_add_co_u32 v0, vcc_lo, s8, v0
	v_add_co_ci_u32_e32 v1, vcc_lo, s9, v1, vcc_lo
	global_store_b32 v[0:1], v2, off
.LBB9_36:
	s_nop 0
	s_sendmsg sendmsg(MSG_DEALLOC_VGPRS)
	s_endpgm
	.section	.rodata,"a",@progbits
	.p2align	6, 0x0
	.amdhsa_kernel _ZL19rocblas_sbmv_kernelILb0ELi64ELi16EPKfPKS1_PKPfEviiT2_lT3_lllS8_lllS7_lT4_llli
		.amdhsa_group_segment_fixed_size 4096
		.amdhsa_private_segment_fixed_size 0
		.amdhsa_kernarg_size 400
		.amdhsa_user_sgpr_count 14
		.amdhsa_user_sgpr_dispatch_ptr 0
		.amdhsa_user_sgpr_queue_ptr 0
		.amdhsa_user_sgpr_kernarg_segment_ptr 1
		.amdhsa_user_sgpr_dispatch_id 0
		.amdhsa_user_sgpr_private_segment_size 0
		.amdhsa_wavefront_size32 1
		.amdhsa_uses_dynamic_stack 0
		.amdhsa_enable_private_segment 0
		.amdhsa_system_sgpr_workgroup_id_x 1
		.amdhsa_system_sgpr_workgroup_id_y 0
		.amdhsa_system_sgpr_workgroup_id_z 1
		.amdhsa_system_sgpr_workgroup_info 0
		.amdhsa_system_vgpr_workitem_id 1
		.amdhsa_next_free_vgpr 20
		.amdhsa_next_free_sgpr 32
		.amdhsa_reserve_vcc 1
		.amdhsa_float_round_mode_32 0
		.amdhsa_float_round_mode_16_64 0
		.amdhsa_float_denorm_mode_32 3
		.amdhsa_float_denorm_mode_16_64 3
		.amdhsa_dx10_clamp 1
		.amdhsa_ieee_mode 1
		.amdhsa_fp16_overflow 0
		.amdhsa_workgroup_processor_mode 1
		.amdhsa_memory_ordered 1
		.amdhsa_forward_progress 0
		.amdhsa_shared_vgpr_count 0
		.amdhsa_exception_fp_ieee_invalid_op 0
		.amdhsa_exception_fp_denorm_src 0
		.amdhsa_exception_fp_ieee_div_zero 0
		.amdhsa_exception_fp_ieee_overflow 0
		.amdhsa_exception_fp_ieee_underflow 0
		.amdhsa_exception_fp_ieee_inexact 0
		.amdhsa_exception_int_div_zero 0
	.end_amdhsa_kernel
	.section	.text._ZL19rocblas_sbmv_kernelILb0ELi64ELi16EPKfPKS1_PKPfEviiT2_lT3_lllS8_lllS7_lT4_llli,"axG",@progbits,_ZL19rocblas_sbmv_kernelILb0ELi64ELi16EPKfPKS1_PKPfEviiT2_lT3_lllS8_lllS7_lT4_llli,comdat
.Lfunc_end9:
	.size	_ZL19rocblas_sbmv_kernelILb0ELi64ELi16EPKfPKS1_PKPfEviiT2_lT3_lllS8_lllS7_lT4_llli, .Lfunc_end9-_ZL19rocblas_sbmv_kernelILb0ELi64ELi16EPKfPKS1_PKPfEviiT2_lT3_lllS8_lllS7_lT4_llli
                                        ; -- End function
	.section	.AMDGPU.csdata,"",@progbits
; Kernel info:
; codeLenInByte = 1708
; NumSgprs: 34
; NumVgprs: 20
; ScratchSize: 0
; MemoryBound: 0
; FloatMode: 240
; IeeeMode: 1
; LDSByteSize: 4096 bytes/workgroup (compile time only)
; SGPRBlocks: 4
; VGPRBlocks: 2
; NumSGPRsForWavesPerEU: 34
; NumVGPRsForWavesPerEU: 20
; Occupancy: 16
; WaveLimiterHint : 1
; COMPUTE_PGM_RSRC2:SCRATCH_EN: 0
; COMPUTE_PGM_RSRC2:USER_SGPR: 14
; COMPUTE_PGM_RSRC2:TRAP_HANDLER: 0
; COMPUTE_PGM_RSRC2:TGID_X_EN: 1
; COMPUTE_PGM_RSRC2:TGID_Y_EN: 0
; COMPUTE_PGM_RSRC2:TGID_Z_EN: 1
; COMPUTE_PGM_RSRC2:TIDIG_COMP_CNT: 1
	.section	.text._ZL19rocblas_sbmv_kernelILb1ELi64ELi16EfPKPKfPKPfEviiT2_lT3_lllS8_lllS7_lT4_llli,"axG",@progbits,_ZL19rocblas_sbmv_kernelILb1ELi64ELi16EfPKPKfPKPfEviiT2_lT3_lllS8_lllS7_lT4_llli,comdat
	.globl	_ZL19rocblas_sbmv_kernelILb1ELi64ELi16EfPKPKfPKPfEviiT2_lT3_lllS8_lllS7_lT4_llli ; -- Begin function _ZL19rocblas_sbmv_kernelILb1ELi64ELi16EfPKPKfPKPfEviiT2_lT3_lllS8_lllS7_lT4_llli
	.p2align	8
	.type	_ZL19rocblas_sbmv_kernelILb1ELi64ELi16EfPKPKfPKPfEviiT2_lT3_lllS8_lllS7_lT4_llli,@function
_ZL19rocblas_sbmv_kernelILb1ELi64ELi16EfPKPKfPKPfEviiT2_lT3_lllS8_lllS7_lT4_llli: ; @_ZL19rocblas_sbmv_kernelILb1ELi64ELi16EfPKPKfPKPfEviiT2_lT3_lllS8_lllS7_lT4_llli
; %bb.0:
	s_load_b64 s[4:5], s[0:1], 0x9c
	s_mov_b32 s2, s15
	s_waitcnt lgkmcnt(0)
	s_lshr_b32 s3, s4, 16
	s_and_b32 s15, s4, 0xffff
	s_and_b32 s4, s5, 0xffff
	s_mul_i32 s3, s3, s15
	s_delay_alu instid0(SALU_CYCLE_1) | instskip(NEXT) | instid1(SALU_CYCLE_1)
	s_mul_i32 s3, s3, s4
	s_cmpk_lg_i32 s3, 0x400
	s_cbranch_scc1 .LBB10_39
; %bb.1:
	s_load_b128 s[4:7], s[0:1], 0x0
	s_waitcnt lgkmcnt(0)
	s_load_b32 s7, s[0:1], 0x58
	v_cmp_eq_f32_e64 s21, s6, 0
	s_waitcnt lgkmcnt(0)
	v_cmp_eq_f32_e64 s3, s7, 1.0
	s_delay_alu instid0(VALU_DEP_1) | instskip(NEXT) | instid1(SALU_CYCLE_1)
	s_and_b32 s3, s21, s3
	s_and_b32 vcc_lo, exec_lo, s3
	s_cbranch_vccnz .LBB10_39
; %bb.2:
	s_clause 0x1
	s_load_b128 s[8:11], s[0:1], 0x18
	s_load_b64 s[16:17], s[0:1], 0x28
	v_cmp_neq_f32_e64 s20, s6, 0
	s_delay_alu instid0(VALU_DEP_1)
	s_and_b32 vcc_lo, exec_lo, s20
	s_cbranch_vccnz .LBB10_4
; %bb.3:
	s_mov_b32 s3, 0
	s_mov_b64 s[18:19], 0
	s_cbranch_execz .LBB10_5
	s_branch .LBB10_6
.LBB10_4:
	s_mov_b32 s3, -1
                                        ; implicit-def: $sgpr18_sgpr19
.LBB10_5:
	s_mov_b32 s3, 0
	s_delay_alu instid0(SALU_CYCLE_1)
	s_lshl_b64 s[12:13], s[2:3], 3
	s_waitcnt lgkmcnt(0)
	s_add_u32 s8, s8, s12
	s_addc_u32 s9, s9, s13
	s_lshl_b64 s[10:11], s[10:11], 2
	s_load_b64 s[8:9], s[8:9], 0x0
	s_waitcnt lgkmcnt(0)
	s_add_u32 s18, s8, s10
	s_addc_u32 s19, s9, s11
.LBB10_6:
	s_waitcnt lgkmcnt(0)
	s_clause 0x1
	s_load_b128 s[8:11], s[0:1], 0x38
	s_load_b64 s[12:13], s[0:1], 0x48
	s_and_not1_b32 vcc_lo, exec_lo, s20
	s_cbranch_vccnz .LBB10_8
; %bb.7:
	s_lshl_b64 s[22:23], s[2:3], 3
	s_waitcnt lgkmcnt(0)
	s_add_u32 s8, s8, s22
	s_addc_u32 s9, s9, s23
	s_lshl_b64 s[10:11], s[10:11], 2
	s_load_b64 s[8:9], s[8:9], 0x0
	s_waitcnt lgkmcnt(0)
	s_add_u32 s8, s8, s10
	s_addc_u32 s9, s9, s11
	s_branch .LBB10_9
.LBB10_8:
	s_waitcnt lgkmcnt(0)
	s_mov_b64 s[8:9], 0
.LBB10_9:
	s_load_b128 s[24:27], s[0:1], 0x68
	s_lshl_b64 s[10:11], s[2:3], 3
	s_load_b64 s[2:3], s[0:1], 0x78
	v_and_b32_e32 v1, 0x3ff, v0
	v_bfe_u32 v0, v0, 10, 10
	s_delay_alu instid0(VALU_DEP_1)
	v_mad_u32_u24 v10, v0, s15, v1
	s_waitcnt lgkmcnt(0)
	s_add_u32 s0, s24, s10
	s_addc_u32 s1, s25, s11
	s_lshl_b64 s[22:23], s[26:27], 2
	s_load_b64 s[10:11], s[0:1], 0x0
	v_cmp_gt_u32_e64 s0, 64, v10
	s_waitcnt lgkmcnt(0)
	s_add_u32 s15, s10, s22
	s_addc_u32 s20, s11, s23
	s_and_not1_b32 vcc_lo, exec_lo, s21
	s_cbranch_vccnz .LBB10_14
; %bb.10:
	v_lshl_add_u32 v3, s14, 6, v10
	s_mov_b32 s1, 0
	s_mov_b32 s21, 0
                                        ; implicit-def: $vgpr2
                                        ; implicit-def: $vgpr0_vgpr1
	s_delay_alu instid0(VALU_DEP_1) | instskip(SKIP_1) | instid1(SALU_CYCLE_1)
	v_cmp_gt_i32_e32 vcc_lo, s4, v3
	s_and_b32 s10, s0, vcc_lo
	s_and_saveexec_b32 s0, s10
	s_cbranch_execz .LBB10_15
; %bb.11:
	v_ashrrev_i32_e32 v2, 31, v3
	v_mul_lo_u32 v4, v3, s3
	v_mad_u64_u32 v[0:1], null, v3, s2, 0
	v_cmp_eq_f32_e64 s10, s7, 0
	s_delay_alu instid0(VALU_DEP_4) | instskip(NEXT) | instid1(VALU_DEP_2)
	v_mul_lo_u32 v2, v2, s2
	s_and_b32 vcc_lo, exec_lo, s10
	s_delay_alu instid0(VALU_DEP_1)
	v_add3_u32 v1, v1, v4, v2
	v_mov_b32_e32 v2, 0
	s_cbranch_vccnz .LBB10_13
; %bb.12:
	s_delay_alu instid0(VALU_DEP_2) | instskip(NEXT) | instid1(VALU_DEP_1)
	v_lshlrev_b64 v[2:3], 2, v[0:1]
	v_add_co_u32 v2, vcc_lo, s15, v2
	s_delay_alu instid0(VALU_DEP_2)
	v_add_co_ci_u32_e32 v3, vcc_lo, s20, v3, vcc_lo
	global_load_b32 v2, v[2:3], off
	s_waitcnt vmcnt(0)
	v_mul_f32_e32 v2, s7, v2
.LBB10_13:
	s_mov_b32 s21, exec_lo
	s_or_b32 exec_lo, exec_lo, s0
	s_delay_alu instid0(SALU_CYCLE_1)
	s_and_b32 vcc_lo, exec_lo, s1
	s_cbranch_vccnz .LBB10_16
	s_branch .LBB10_37
.LBB10_14:
	s_mov_b32 s21, 0
                                        ; implicit-def: $vgpr2
                                        ; implicit-def: $vgpr0_vgpr1
	s_cbranch_execnz .LBB10_16
	s_branch .LBB10_37
.LBB10_15:
	s_or_b32 exec_lo, exec_lo, s0
	s_delay_alu instid0(SALU_CYCLE_1)
	s_and_b32 vcc_lo, exec_lo, s1
	s_cbranch_vccz .LBB10_37
.LBB10_16:
	v_lshrrev_b32_e32 v0, 6, v10
	v_mov_b32_e32 v12, 0
	s_lshl_b32 s14, s14, 6
	s_mov_b32 s22, exec_lo
	s_delay_alu instid0(VALU_DEP_2)
	v_cmpx_gt_i32_e64 s4, v0
	s_cbranch_execz .LBB10_32
; %bb.17:
	v_mad_u64_u32 v[6:7], null, s16, v0, 0
	v_and_b32_e32 v2, 63, v10
	s_ashr_i32 s0, s14, 31
	v_mov_b32_e32 v3, 0
	s_mul_i32 s0, s0, s16
	s_lshl_b64 s[10:11], s[16:17], 6
	s_delay_alu instid0(VALU_DEP_3) | instskip(SKIP_2) | instid1(VALU_DEP_3)
	v_mov_b32_e32 v1, v7
	v_or_b32_e32 v11, s14, v2
	v_sub_nc_u32_e32 v12, s5, v2
	v_mad_u64_u32 v[7:8], null, s17, v0, v[1:2]
	s_delay_alu instid0(VALU_DEP_3)
	v_mul_lo_u32 v9, v11, s17
	v_mad_u64_u32 v[4:5], null, v11, s16, 0
	v_mov_b32_e32 v1, v3
	v_add3_u32 v2, s5, s14, v2
	v_cmp_gt_i32_e32 vcc_lo, s4, v11
	v_lshlrev_b64 v[6:7], 2, v[6:7]
	v_subrev_nc_u32_e32 v13, s14, v12
	v_add3_u32 v5, v5, v9, s0
	v_sub_nc_u32_e32 v2, v2, v0
	s_delay_alu instid0(VALU_DEP_2) | instskip(SKIP_2) | instid1(VALU_DEP_3)
	v_lshlrev_b64 v[8:9], 2, v[4:5]
	v_dual_mov_b32 v5, v1 :: v_dual_mov_b32 v4, v0
	v_mov_b32_e32 v12, v3
	v_add_co_u32 v14, s0, s18, v8
	s_delay_alu instid0(VALU_DEP_1) | instskip(SKIP_1) | instid1(VALU_DEP_1)
	v_add_co_ci_u32_e64 v15, s0, s19, v9, s0
	v_add_co_u32 v16, s0, s18, v6
	v_add_co_ci_u32_e64 v17, s0, s19, v7, s0
	s_mov_b32 s18, 0
	s_branch .LBB10_20
.LBB10_18:                              ;   in Loop: Header=BB10_20 Depth=1
	s_or_b32 exec_lo, exec_lo, s1
.LBB10_19:                              ;   in Loop: Header=BB10_20 Depth=1
	s_delay_alu instid0(SALU_CYCLE_1) | instskip(SKIP_1) | instid1(VALU_DEP_1)
	s_or_b32 exec_lo, exec_lo, s16
	v_add_co_u32 v4, s0, v4, 16
	v_add_co_ci_u32_e64 v5, s0, 0, v5, s0
	v_add_co_u32 v16, s1, v16, s10
	s_delay_alu instid0(VALU_DEP_3) | instskip(SKIP_3) | instid1(VALU_DEP_4)
	v_cmp_le_i32_e64 s0, s4, v4
	v_add_nc_u32_e32 v0, 16, v0
	v_add_co_ci_u32_e64 v17, s1, s11, v17, s1
	v_add_nc_u32_e32 v2, -16, v2
	s_or_b32 s18, s0, s18
	s_delay_alu instid0(SALU_CYCLE_1)
	s_and_not1_b32 exec_lo, exec_lo, s18
	s_cbranch_execz .LBB10_31
.LBB10_20:                              ; =>This Inner Loop Header: Depth=1
	s_and_saveexec_b32 s16, vcc_lo
	s_cbranch_execz .LBB10_19
; %bb.21:                               ;   in Loop: Header=BB10_20 Depth=1
	s_mov_b32 s17, 0
                                        ; implicit-def: $vgpr6_vgpr7
                                        ; implicit-def: $vgpr8_vgpr9
	s_mov_b32 s1, exec_lo
	v_cmpx_ge_i32_e64 v4, v11
	s_xor_b32 s19, exec_lo, s1
	s_cbranch_execnz .LBB10_24
; %bb.22:                               ;   in Loop: Header=BB10_20 Depth=1
	s_and_not1_saveexec_b32 s19, s19
	s_cbranch_execnz .LBB10_27
.LBB10_23:                              ;   in Loop: Header=BB10_20 Depth=1
	s_or_b32 exec_lo, exec_lo, s19
	s_and_saveexec_b32 s1, s17
	s_cbranch_execz .LBB10_18
	s_branch .LBB10_30
.LBB10_24:                              ;   in Loop: Header=BB10_20 Depth=1
	v_cmp_ge_i32_e64 s0, s5, v2
	v_cmp_lt_i32_e64 s1, -1, v2
                                        ; implicit-def: $vgpr6_vgpr7
                                        ; implicit-def: $vgpr8_vgpr9
	s_delay_alu instid0(VALU_DEP_1) | instskip(SKIP_2) | instid1(SALU_CYCLE_1)
	s_and_b32 s0, s0, s1
	s_mov_b32 s1, 0
	s_and_saveexec_b32 s17, s0
	s_xor_b32 s17, exec_lo, s17
; %bb.25:                               ;   in Loop: Header=BB10_20 Depth=1
	v_lshlrev_b64 v[6:7], 2, v[2:3]
	v_mov_b32_e32 v1, v3
	s_mov_b32 s1, exec_lo
	s_delay_alu instid0(VALU_DEP_1) | instskip(NEXT) | instid1(VALU_DEP_3)
	v_dual_mov_b32 v9, v1 :: v_dual_mov_b32 v8, v0
	v_add_co_u32 v6, s0, v16, v6
	s_delay_alu instid0(VALU_DEP_1)
	v_add_co_ci_u32_e64 v7, s0, v17, v7, s0
; %bb.26:                               ;   in Loop: Header=BB10_20 Depth=1
	s_or_b32 exec_lo, exec_lo, s17
	s_delay_alu instid0(SALU_CYCLE_1)
	s_and_b32 s17, s1, exec_lo
	s_and_not1_saveexec_b32 s19, s19
	s_cbranch_execz .LBB10_23
.LBB10_27:                              ;   in Loop: Header=BB10_20 Depth=1
	v_add_nc_u32_e32 v8, v13, v4
                                        ; implicit-def: $vgpr6_vgpr7
	s_delay_alu instid0(VALU_DEP_1) | instskip(SKIP_1) | instid1(VALU_DEP_1)
	v_cmp_ge_i32_e64 s0, s5, v8
	v_cmp_lt_i32_e64 s1, -1, v8
	s_and_b32 s23, s0, s1
	s_mov_b32 s0, s17
	s_and_saveexec_b32 s1, s23
; %bb.28:                               ;   in Loop: Header=BB10_20 Depth=1
	v_mov_b32_e32 v9, v3
	s_delay_alu instid0(VALU_DEP_1) | instskip(NEXT) | instid1(VALU_DEP_1)
	v_lshlrev_b64 v[6:7], 2, v[8:9]
	v_add_co_u32 v6, s0, v14, v6
	s_delay_alu instid0(VALU_DEP_1)
	v_add_co_ci_u32_e64 v7, s0, v15, v7, s0
	s_or_b32 s0, s17, exec_lo
; %bb.29:                               ;   in Loop: Header=BB10_20 Depth=1
	s_or_b32 exec_lo, exec_lo, s1
	v_dual_mov_b32 v9, v5 :: v_dual_mov_b32 v8, v4
	s_and_not1_b32 s1, s17, exec_lo
	s_and_b32 s0, s0, exec_lo
	s_delay_alu instid0(SALU_CYCLE_1)
	s_or_b32 s17, s1, s0
	s_or_b32 exec_lo, exec_lo, s19
	s_and_saveexec_b32 s1, s17
	s_cbranch_execz .LBB10_18
.LBB10_30:                              ;   in Loop: Header=BB10_20 Depth=1
	v_mul_lo_u32 v1, v9, s12
	v_mul_lo_u32 v9, v8, s13
	v_mad_u64_u32 v[18:19], null, v8, s12, 0
	s_delay_alu instid0(VALU_DEP_1) | instskip(NEXT) | instid1(VALU_DEP_1)
	v_add3_u32 v19, v19, v9, v1
	v_lshlrev_b64 v[8:9], 2, v[18:19]
	s_delay_alu instid0(VALU_DEP_1) | instskip(NEXT) | instid1(VALU_DEP_1)
	v_add_co_u32 v8, s0, s8, v8
	v_add_co_ci_u32_e64 v9, s0, s9, v9, s0
	flat_load_b32 v1, v[6:7]
	flat_load_b32 v6, v[8:9]
	s_waitcnt vmcnt(0) lgkmcnt(0)
	v_fmac_f32_e32 v12, v1, v6
	s_branch .LBB10_18
.LBB10_31:
	s_or_b32 exec_lo, exec_lo, s18
.LBB10_32:
	s_delay_alu instid0(SALU_CYCLE_1) | instskip(SKIP_3) | instid1(VALU_DEP_3)
	s_or_b32 exec_lo, exec_lo, s22
	v_add_nc_u32_e32 v4, s14, v10
	v_cmp_gt_u32_e32 vcc_lo, 64, v10
	v_lshlrev_b32_e32 v3, 2, v10
                                        ; implicit-def: $vgpr2
                                        ; implicit-def: $vgpr0_vgpr1
	v_cmp_gt_i32_e64 s0, s4, v4
	ds_store_b32 v3, v12
	s_waitcnt lgkmcnt(0)
	s_barrier
	s_and_b32 s1, vcc_lo, s0
	buffer_gl0_inv
	s_and_saveexec_b32 s0, s1
	s_cbranch_execz .LBB10_36
; %bb.33:
	ds_load_2addr_stride64_b32 v[0:1], v3 offset1:1
	ds_load_2addr_stride64_b32 v[5:6], v3 offset0:2 offset1:3
	ds_load_2addr_stride64_b32 v[7:8], v3 offset0:4 offset1:5
	;; [unrolled: 1-line block ×3, first 2 shown]
	v_cmp_eq_f32_e64 s1, s7, 0
	s_delay_alu instid0(VALU_DEP_1) | instskip(SKIP_3) | instid1(VALU_DEP_1)
	s_and_b32 vcc_lo, exec_lo, s1
	s_waitcnt lgkmcnt(3)
	v_add_f32_e32 v0, v0, v1
	s_waitcnt lgkmcnt(2)
	v_add_f32_e32 v0, v5, v0
	s_delay_alu instid0(VALU_DEP_1)
	v_add_f32_e32 v0, v6, v0
	ds_load_2addr_stride64_b32 v[5:6], v3 offset0:10 offset1:11
	s_waitcnt lgkmcnt(2)
	v_add_f32_e32 v2, v7, v0
	ds_load_2addr_stride64_b32 v[0:1], v3 offset0:8 offset1:9
	v_add_f32_e32 v2, v8, v2
	s_waitcnt lgkmcnt(2)
	s_delay_alu instid0(VALU_DEP_1) | instskip(NEXT) | instid1(VALU_DEP_1)
	v_add_f32_e32 v2, v9, v2
	v_add_f32_e32 v2, v10, v2
	ds_load_2addr_stride64_b32 v[7:8], v3 offset0:12 offset1:13
	ds_load_2addr_stride64_b32 v[9:10], v3 offset0:14 offset1:15
	s_waitcnt lgkmcnt(2)
	v_add_f32_e32 v0, v0, v2
	s_delay_alu instid0(VALU_DEP_1) | instskip(NEXT) | instid1(VALU_DEP_1)
	v_add_f32_e32 v0, v1, v0
	v_add_f32_e32 v0, v5, v0
	v_ashrrev_i32_e32 v5, 31, v4
	s_delay_alu instid0(VALU_DEP_2) | instskip(SKIP_2) | instid1(VALU_DEP_2)
	v_add_f32_e32 v0, v6, v0
	v_mul_lo_u32 v6, v4, s3
	s_waitcnt lgkmcnt(1)
	v_add_f32_e32 v0, v7, v0
	s_delay_alu instid0(VALU_DEP_1) | instskip(SKIP_3) | instid1(VALU_DEP_3)
	v_add_f32_e32 v2, v8, v0
	v_mad_u64_u32 v[0:1], null, v4, s2, 0
	v_mul_lo_u32 v4, v5, s2
	s_waitcnt lgkmcnt(0)
	v_add_f32_e32 v2, v9, v2
	s_delay_alu instid0(VALU_DEP_1) | instskip(NEXT) | instid1(VALU_DEP_3)
	v_add_f32_e32 v5, v10, v2
	v_add3_u32 v1, v1, v6, v4
	s_delay_alu instid0(VALU_DEP_2)
	v_mul_f32_e32 v2, s6, v5
	ds_store_b32 v3, v5
	s_cbranch_vccnz .LBB10_35
; %bb.34:
	v_lshlrev_b64 v[3:4], 2, v[0:1]
	s_delay_alu instid0(VALU_DEP_1) | instskip(NEXT) | instid1(VALU_DEP_2)
	v_add_co_u32 v3, vcc_lo, s15, v3
	v_add_co_ci_u32_e32 v4, vcc_lo, s20, v4, vcc_lo
	global_load_b32 v3, v[3:4], off
	s_waitcnt vmcnt(0)
	v_fmac_f32_e32 v2, s7, v3
.LBB10_35:
	s_or_b32 s21, s21, exec_lo
.LBB10_36:
	s_or_b32 exec_lo, exec_lo, s0
.LBB10_37:
	s_and_saveexec_b32 s0, s21
	s_cbranch_execz .LBB10_39
; %bb.38:
	v_lshlrev_b64 v[0:1], 2, v[0:1]
	s_delay_alu instid0(VALU_DEP_1) | instskip(NEXT) | instid1(VALU_DEP_2)
	v_add_co_u32 v0, vcc_lo, s15, v0
	v_add_co_ci_u32_e32 v1, vcc_lo, s20, v1, vcc_lo
	global_store_b32 v[0:1], v2, off
.LBB10_39:
	s_nop 0
	s_sendmsg sendmsg(MSG_DEALLOC_VGPRS)
	s_endpgm
	.section	.rodata,"a",@progbits
	.p2align	6, 0x0
	.amdhsa_kernel _ZL19rocblas_sbmv_kernelILb1ELi64ELi16EfPKPKfPKPfEviiT2_lT3_lllS8_lllS7_lT4_llli
		.amdhsa_group_segment_fixed_size 4096
		.amdhsa_private_segment_fixed_size 0
		.amdhsa_kernarg_size 400
		.amdhsa_user_sgpr_count 14
		.amdhsa_user_sgpr_dispatch_ptr 0
		.amdhsa_user_sgpr_queue_ptr 0
		.amdhsa_user_sgpr_kernarg_segment_ptr 1
		.amdhsa_user_sgpr_dispatch_id 0
		.amdhsa_user_sgpr_private_segment_size 0
		.amdhsa_wavefront_size32 1
		.amdhsa_uses_dynamic_stack 0
		.amdhsa_enable_private_segment 0
		.amdhsa_system_sgpr_workgroup_id_x 1
		.amdhsa_system_sgpr_workgroup_id_y 0
		.amdhsa_system_sgpr_workgroup_id_z 1
		.amdhsa_system_sgpr_workgroup_info 0
		.amdhsa_system_vgpr_workitem_id 1
		.amdhsa_next_free_vgpr 20
		.amdhsa_next_free_sgpr 28
		.amdhsa_reserve_vcc 1
		.amdhsa_float_round_mode_32 0
		.amdhsa_float_round_mode_16_64 0
		.amdhsa_float_denorm_mode_32 3
		.amdhsa_float_denorm_mode_16_64 3
		.amdhsa_dx10_clamp 1
		.amdhsa_ieee_mode 1
		.amdhsa_fp16_overflow 0
		.amdhsa_workgroup_processor_mode 1
		.amdhsa_memory_ordered 1
		.amdhsa_forward_progress 0
		.amdhsa_shared_vgpr_count 0
		.amdhsa_exception_fp_ieee_invalid_op 0
		.amdhsa_exception_fp_denorm_src 0
		.amdhsa_exception_fp_ieee_div_zero 0
		.amdhsa_exception_fp_ieee_overflow 0
		.amdhsa_exception_fp_ieee_underflow 0
		.amdhsa_exception_fp_ieee_inexact 0
		.amdhsa_exception_int_div_zero 0
	.end_amdhsa_kernel
	.section	.text._ZL19rocblas_sbmv_kernelILb1ELi64ELi16EfPKPKfPKPfEviiT2_lT3_lllS8_lllS7_lT4_llli,"axG",@progbits,_ZL19rocblas_sbmv_kernelILb1ELi64ELi16EfPKPKfPKPfEviiT2_lT3_lllS8_lllS7_lT4_llli,comdat
.Lfunc_end10:
	.size	_ZL19rocblas_sbmv_kernelILb1ELi64ELi16EfPKPKfPKPfEviiT2_lT3_lllS8_lllS7_lT4_llli, .Lfunc_end10-_ZL19rocblas_sbmv_kernelILb1ELi64ELi16EfPKPKfPKPfEviiT2_lT3_lllS8_lllS7_lT4_llli
                                        ; -- End function
	.section	.AMDGPU.csdata,"",@progbits
; Kernel info:
; codeLenInByte = 1676
; NumSgprs: 30
; NumVgprs: 20
; ScratchSize: 0
; MemoryBound: 0
; FloatMode: 240
; IeeeMode: 1
; LDSByteSize: 4096 bytes/workgroup (compile time only)
; SGPRBlocks: 3
; VGPRBlocks: 2
; NumSGPRsForWavesPerEU: 30
; NumVGPRsForWavesPerEU: 20
; Occupancy: 16
; WaveLimiterHint : 1
; COMPUTE_PGM_RSRC2:SCRATCH_EN: 0
; COMPUTE_PGM_RSRC2:USER_SGPR: 14
; COMPUTE_PGM_RSRC2:TRAP_HANDLER: 0
; COMPUTE_PGM_RSRC2:TGID_X_EN: 1
; COMPUTE_PGM_RSRC2:TGID_Y_EN: 0
; COMPUTE_PGM_RSRC2:TGID_Z_EN: 1
; COMPUTE_PGM_RSRC2:TIDIG_COMP_CNT: 1
	.section	.text._ZL19rocblas_sbmv_kernelILb0ELi64ELi16EfPKPKfPKPfEviiT2_lT3_lllS8_lllS7_lT4_llli,"axG",@progbits,_ZL19rocblas_sbmv_kernelILb0ELi64ELi16EfPKPKfPKPfEviiT2_lT3_lllS8_lllS7_lT4_llli,comdat
	.globl	_ZL19rocblas_sbmv_kernelILb0ELi64ELi16EfPKPKfPKPfEviiT2_lT3_lllS8_lllS7_lT4_llli ; -- Begin function _ZL19rocblas_sbmv_kernelILb0ELi64ELi16EfPKPKfPKPfEviiT2_lT3_lllS8_lllS7_lT4_llli
	.p2align	8
	.type	_ZL19rocblas_sbmv_kernelILb0ELi64ELi16EfPKPKfPKPfEviiT2_lT3_lllS8_lllS7_lT4_llli,@function
_ZL19rocblas_sbmv_kernelILb0ELi64ELi16EfPKPKfPKPfEviiT2_lT3_lllS8_lllS7_lT4_llli: ; @_ZL19rocblas_sbmv_kernelILb0ELi64ELi16EfPKPKfPKPfEviiT2_lT3_lllS8_lllS7_lT4_llli
; %bb.0:
	s_load_b64 s[4:5], s[0:1], 0x9c
	s_mov_b32 s2, s15
	s_waitcnt lgkmcnt(0)
	s_lshr_b32 s3, s4, 16
	s_and_b32 s15, s4, 0xffff
	s_and_b32 s4, s5, 0xffff
	s_mul_i32 s3, s3, s15
	s_delay_alu instid0(SALU_CYCLE_1) | instskip(NEXT) | instid1(SALU_CYCLE_1)
	s_mul_i32 s3, s3, s4
	s_cmpk_lg_i32 s3, 0x400
	s_cbranch_scc1 .LBB11_39
; %bb.1:
	s_load_b128 s[4:7], s[0:1], 0x0
	s_waitcnt lgkmcnt(0)
	s_load_b32 s7, s[0:1], 0x58
	v_cmp_eq_f32_e64 s21, s6, 0
	s_waitcnt lgkmcnt(0)
	v_cmp_eq_f32_e64 s3, s7, 1.0
	s_delay_alu instid0(VALU_DEP_1) | instskip(NEXT) | instid1(SALU_CYCLE_1)
	s_and_b32 s3, s21, s3
	s_and_b32 vcc_lo, exec_lo, s3
	s_cbranch_vccnz .LBB11_39
; %bb.2:
	s_clause 0x1
	s_load_b128 s[8:11], s[0:1], 0x18
	s_load_b64 s[16:17], s[0:1], 0x28
	v_cmp_neq_f32_e64 s20, s6, 0
	s_delay_alu instid0(VALU_DEP_1)
	s_and_b32 vcc_lo, exec_lo, s20
	s_cbranch_vccnz .LBB11_4
; %bb.3:
	s_mov_b32 s3, 0
	s_mov_b64 s[18:19], 0
	s_cbranch_execz .LBB11_5
	s_branch .LBB11_6
.LBB11_4:
	s_mov_b32 s3, -1
                                        ; implicit-def: $sgpr18_sgpr19
.LBB11_5:
	s_mov_b32 s3, 0
	s_delay_alu instid0(SALU_CYCLE_1)
	s_lshl_b64 s[12:13], s[2:3], 3
	s_waitcnt lgkmcnt(0)
	s_add_u32 s8, s8, s12
	s_addc_u32 s9, s9, s13
	s_lshl_b64 s[10:11], s[10:11], 2
	s_load_b64 s[8:9], s[8:9], 0x0
	s_waitcnt lgkmcnt(0)
	s_add_u32 s18, s8, s10
	s_addc_u32 s19, s9, s11
.LBB11_6:
	s_waitcnt lgkmcnt(0)
	s_clause 0x1
	s_load_b128 s[8:11], s[0:1], 0x38
	s_load_b64 s[12:13], s[0:1], 0x48
	s_and_not1_b32 vcc_lo, exec_lo, s20
	s_cbranch_vccnz .LBB11_8
; %bb.7:
	s_lshl_b64 s[22:23], s[2:3], 3
	s_waitcnt lgkmcnt(0)
	s_add_u32 s8, s8, s22
	s_addc_u32 s9, s9, s23
	s_lshl_b64 s[10:11], s[10:11], 2
	s_load_b64 s[8:9], s[8:9], 0x0
	s_waitcnt lgkmcnt(0)
	s_add_u32 s8, s8, s10
	s_addc_u32 s9, s9, s11
	s_branch .LBB11_9
.LBB11_8:
	s_waitcnt lgkmcnt(0)
	s_mov_b64 s[8:9], 0
.LBB11_9:
	s_load_b128 s[24:27], s[0:1], 0x68
	s_lshl_b64 s[10:11], s[2:3], 3
	s_load_b64 s[2:3], s[0:1], 0x78
	v_and_b32_e32 v1, 0x3ff, v0
	v_bfe_u32 v0, v0, 10, 10
	s_delay_alu instid0(VALU_DEP_1)
	v_mad_u32_u24 v10, v0, s15, v1
	s_waitcnt lgkmcnt(0)
	s_add_u32 s0, s24, s10
	s_addc_u32 s1, s25, s11
	s_lshl_b64 s[22:23], s[26:27], 2
	s_load_b64 s[10:11], s[0:1], 0x0
	v_cmp_gt_u32_e64 s0, 64, v10
	s_waitcnt lgkmcnt(0)
	s_add_u32 s15, s10, s22
	s_addc_u32 s20, s11, s23
	s_and_not1_b32 vcc_lo, exec_lo, s21
	s_cbranch_vccnz .LBB11_14
; %bb.10:
	v_lshl_add_u32 v3, s14, 6, v10
	s_mov_b32 s1, 0
	s_mov_b32 s21, 0
                                        ; implicit-def: $vgpr2
                                        ; implicit-def: $vgpr0_vgpr1
	s_delay_alu instid0(VALU_DEP_1) | instskip(SKIP_1) | instid1(SALU_CYCLE_1)
	v_cmp_gt_i32_e32 vcc_lo, s4, v3
	s_and_b32 s10, s0, vcc_lo
	s_and_saveexec_b32 s0, s10
	s_cbranch_execz .LBB11_15
; %bb.11:
	v_ashrrev_i32_e32 v2, 31, v3
	v_mul_lo_u32 v4, v3, s3
	v_mad_u64_u32 v[0:1], null, v3, s2, 0
	v_cmp_eq_f32_e64 s10, s7, 0
	s_delay_alu instid0(VALU_DEP_4) | instskip(NEXT) | instid1(VALU_DEP_2)
	v_mul_lo_u32 v2, v2, s2
	s_and_b32 vcc_lo, exec_lo, s10
	s_delay_alu instid0(VALU_DEP_1)
	v_add3_u32 v1, v1, v4, v2
	v_mov_b32_e32 v2, 0
	s_cbranch_vccnz .LBB11_13
; %bb.12:
	s_delay_alu instid0(VALU_DEP_2) | instskip(NEXT) | instid1(VALU_DEP_1)
	v_lshlrev_b64 v[2:3], 2, v[0:1]
	v_add_co_u32 v2, vcc_lo, s15, v2
	s_delay_alu instid0(VALU_DEP_2)
	v_add_co_ci_u32_e32 v3, vcc_lo, s20, v3, vcc_lo
	global_load_b32 v2, v[2:3], off
	s_waitcnt vmcnt(0)
	v_mul_f32_e32 v2, s7, v2
.LBB11_13:
	s_mov_b32 s21, exec_lo
	s_or_b32 exec_lo, exec_lo, s0
	s_delay_alu instid0(SALU_CYCLE_1)
	s_and_b32 vcc_lo, exec_lo, s1
	s_cbranch_vccnz .LBB11_16
	s_branch .LBB11_37
.LBB11_14:
	s_mov_b32 s21, 0
                                        ; implicit-def: $vgpr2
                                        ; implicit-def: $vgpr0_vgpr1
	s_cbranch_execnz .LBB11_16
	s_branch .LBB11_37
.LBB11_15:
	s_or_b32 exec_lo, exec_lo, s0
	s_delay_alu instid0(SALU_CYCLE_1)
	s_and_b32 vcc_lo, exec_lo, s1
	s_cbranch_vccz .LBB11_37
.LBB11_16:
	v_lshrrev_b32_e32 v0, 6, v10
	v_mov_b32_e32 v12, 0
	s_lshl_b32 s14, s14, 6
	s_mov_b32 s22, exec_lo
	s_delay_alu instid0(VALU_DEP_2)
	v_cmpx_gt_i32_e64 s4, v0
	s_cbranch_execz .LBB11_32
; %bb.17:
	v_mad_u64_u32 v[6:7], null, s16, v0, 0
	v_and_b32_e32 v8, 63, v10
	s_ashr_i32 s0, s14, 31
	s_lshl_b64 s[10:11], s[16:17], 6
	s_mul_i32 s0, s0, s16
	s_delay_alu instid0(VALU_DEP_2) | instskip(SKIP_2) | instid1(VALU_DEP_3)
	v_mov_b32_e32 v1, v7
	v_or_b32_e32 v11, s14, v8
	v_add_nc_u32_e32 v12, s14, v8
	v_mad_u64_u32 v[2:3], null, s17, v0, v[1:2]
	s_delay_alu instid0(VALU_DEP_3) | instskip(SKIP_4) | instid1(VALU_DEP_3)
	v_mul_lo_u32 v7, v11, s17
	v_mad_u64_u32 v[4:5], null, v11, s16, 0
	v_mov_b32_e32 v3, 0
	v_cmp_gt_i32_e32 vcc_lo, s4, v11
	v_sub_nc_u32_e32 v13, 0, v12
	v_mov_b32_e32 v1, v3
	v_add3_u32 v5, v5, v7, s0
	v_mov_b32_e32 v7, v2
	v_sub_nc_u32_e32 v2, v12, v0
	v_mov_b32_e32 v12, v3
	s_delay_alu instid0(VALU_DEP_4) | instskip(SKIP_2) | instid1(VALU_DEP_3)
	v_lshlrev_b64 v[8:9], 2, v[4:5]
	v_dual_mov_b32 v5, v1 :: v_dual_mov_b32 v4, v0
	v_lshlrev_b64 v[6:7], 2, v[6:7]
	v_add_co_u32 v14, s0, s18, v8
	s_delay_alu instid0(VALU_DEP_1) | instskip(NEXT) | instid1(VALU_DEP_3)
	v_add_co_ci_u32_e64 v15, s0, s19, v9, s0
	v_add_co_u32 v16, s0, s18, v6
	s_delay_alu instid0(VALU_DEP_1)
	v_add_co_ci_u32_e64 v17, s0, s19, v7, s0
	s_mov_b32 s18, 0
	s_branch .LBB11_20
.LBB11_18:                              ;   in Loop: Header=BB11_20 Depth=1
	s_or_b32 exec_lo, exec_lo, s1
.LBB11_19:                              ;   in Loop: Header=BB11_20 Depth=1
	s_delay_alu instid0(SALU_CYCLE_1) | instskip(SKIP_1) | instid1(VALU_DEP_1)
	s_or_b32 exec_lo, exec_lo, s16
	v_add_co_u32 v4, s0, v4, 16
	v_add_co_ci_u32_e64 v5, s0, 0, v5, s0
	v_add_co_u32 v16, s1, v16, s10
	s_delay_alu instid0(VALU_DEP_3) | instskip(SKIP_3) | instid1(VALU_DEP_4)
	v_cmp_le_i32_e64 s0, s4, v4
	v_add_nc_u32_e32 v0, 16, v0
	v_add_co_ci_u32_e64 v17, s1, s11, v17, s1
	v_add_nc_u32_e32 v2, -16, v2
	s_or_b32 s18, s0, s18
	s_delay_alu instid0(SALU_CYCLE_1)
	s_and_not1_b32 exec_lo, exec_lo, s18
	s_cbranch_execz .LBB11_31
.LBB11_20:                              ; =>This Inner Loop Header: Depth=1
	s_and_saveexec_b32 s16, vcc_lo
	s_cbranch_execz .LBB11_19
; %bb.21:                               ;   in Loop: Header=BB11_20 Depth=1
	s_mov_b32 s17, 0
                                        ; implicit-def: $vgpr6_vgpr7
                                        ; implicit-def: $vgpr8_vgpr9
	s_mov_b32 s1, exec_lo
	v_cmpx_le_i32_e64 v4, v11
	s_xor_b32 s19, exec_lo, s1
	s_cbranch_execnz .LBB11_24
; %bb.22:                               ;   in Loop: Header=BB11_20 Depth=1
	s_and_not1_saveexec_b32 s19, s19
	s_cbranch_execnz .LBB11_27
.LBB11_23:                              ;   in Loop: Header=BB11_20 Depth=1
	s_or_b32 exec_lo, exec_lo, s19
	s_and_saveexec_b32 s1, s17
	s_cbranch_execz .LBB11_18
	s_branch .LBB11_30
.LBB11_24:                              ;   in Loop: Header=BB11_20 Depth=1
	v_cmp_ge_i32_e64 s0, s5, v2
	v_cmp_lt_i32_e64 s1, -1, v2
                                        ; implicit-def: $vgpr6_vgpr7
                                        ; implicit-def: $vgpr8_vgpr9
	s_delay_alu instid0(VALU_DEP_1)
	s_and_b32 s0, s0, s1
	s_mov_b32 s1, 0
	s_and_saveexec_b32 s17, s0
; %bb.25:                               ;   in Loop: Header=BB11_20 Depth=1
	v_lshlrev_b64 v[6:7], 2, v[2:3]
	v_mov_b32_e32 v1, v3
	s_mov_b32 s1, exec_lo
	s_delay_alu instid0(VALU_DEP_1) | instskip(NEXT) | instid1(VALU_DEP_3)
	v_dual_mov_b32 v9, v1 :: v_dual_mov_b32 v8, v0
	v_add_co_u32 v6, s0, v16, v6
	s_delay_alu instid0(VALU_DEP_1)
	v_add_co_ci_u32_e64 v7, s0, v17, v7, s0
; %bb.26:                               ;   in Loop: Header=BB11_20 Depth=1
	s_or_b32 exec_lo, exec_lo, s17
	s_delay_alu instid0(SALU_CYCLE_1)
	s_and_b32 s17, s1, exec_lo
	s_and_not1_saveexec_b32 s19, s19
	s_cbranch_execz .LBB11_23
.LBB11_27:                              ;   in Loop: Header=BB11_20 Depth=1
	v_add_nc_u32_e32 v8, v13, v4
                                        ; implicit-def: $vgpr6_vgpr7
	s_delay_alu instid0(VALU_DEP_1) | instskip(SKIP_1) | instid1(VALU_DEP_1)
	v_cmp_ge_i32_e64 s0, s5, v8
	v_cmp_lt_i32_e64 s1, -1, v8
	s_and_b32 s23, s0, s1
	s_mov_b32 s0, s17
	s_and_saveexec_b32 s1, s23
; %bb.28:                               ;   in Loop: Header=BB11_20 Depth=1
	v_mov_b32_e32 v9, v3
	s_delay_alu instid0(VALU_DEP_1) | instskip(NEXT) | instid1(VALU_DEP_1)
	v_lshlrev_b64 v[6:7], 2, v[8:9]
	v_add_co_u32 v6, s0, v14, v6
	s_delay_alu instid0(VALU_DEP_1)
	v_add_co_ci_u32_e64 v7, s0, v15, v7, s0
	s_or_b32 s0, s17, exec_lo
; %bb.29:                               ;   in Loop: Header=BB11_20 Depth=1
	s_or_b32 exec_lo, exec_lo, s1
	v_dual_mov_b32 v9, v5 :: v_dual_mov_b32 v8, v4
	s_and_not1_b32 s1, s17, exec_lo
	s_and_b32 s0, s0, exec_lo
	s_delay_alu instid0(SALU_CYCLE_1)
	s_or_b32 s17, s1, s0
	s_or_b32 exec_lo, exec_lo, s19
	s_and_saveexec_b32 s1, s17
	s_cbranch_execz .LBB11_18
.LBB11_30:                              ;   in Loop: Header=BB11_20 Depth=1
	v_mul_lo_u32 v1, v9, s12
	v_mul_lo_u32 v9, v8, s13
	v_mad_u64_u32 v[18:19], null, v8, s12, 0
	s_delay_alu instid0(VALU_DEP_1) | instskip(NEXT) | instid1(VALU_DEP_1)
	v_add3_u32 v19, v19, v9, v1
	v_lshlrev_b64 v[8:9], 2, v[18:19]
	s_delay_alu instid0(VALU_DEP_1) | instskip(NEXT) | instid1(VALU_DEP_1)
	v_add_co_u32 v8, s0, s8, v8
	v_add_co_ci_u32_e64 v9, s0, s9, v9, s0
	flat_load_b32 v1, v[6:7]
	flat_load_b32 v6, v[8:9]
	s_waitcnt vmcnt(0) lgkmcnt(0)
	v_fmac_f32_e32 v12, v1, v6
	s_branch .LBB11_18
.LBB11_31:
	s_or_b32 exec_lo, exec_lo, s18
.LBB11_32:
	s_delay_alu instid0(SALU_CYCLE_1) | instskip(SKIP_3) | instid1(VALU_DEP_3)
	s_or_b32 exec_lo, exec_lo, s22
	v_add_nc_u32_e32 v4, s14, v10
	v_cmp_gt_u32_e32 vcc_lo, 64, v10
	v_lshlrev_b32_e32 v3, 2, v10
                                        ; implicit-def: $vgpr2
                                        ; implicit-def: $vgpr0_vgpr1
	v_cmp_gt_i32_e64 s0, s4, v4
	ds_store_b32 v3, v12
	s_waitcnt lgkmcnt(0)
	s_barrier
	s_and_b32 s1, vcc_lo, s0
	buffer_gl0_inv
	s_and_saveexec_b32 s0, s1
	s_cbranch_execz .LBB11_36
; %bb.33:
	ds_load_2addr_stride64_b32 v[0:1], v3 offset1:1
	ds_load_2addr_stride64_b32 v[5:6], v3 offset0:2 offset1:3
	ds_load_2addr_stride64_b32 v[7:8], v3 offset0:4 offset1:5
	;; [unrolled: 1-line block ×3, first 2 shown]
	v_cmp_eq_f32_e64 s1, s7, 0
	s_delay_alu instid0(VALU_DEP_1) | instskip(SKIP_3) | instid1(VALU_DEP_1)
	s_and_b32 vcc_lo, exec_lo, s1
	s_waitcnt lgkmcnt(3)
	v_add_f32_e32 v0, v0, v1
	s_waitcnt lgkmcnt(2)
	v_add_f32_e32 v0, v5, v0
	s_delay_alu instid0(VALU_DEP_1)
	v_add_f32_e32 v0, v6, v0
	ds_load_2addr_stride64_b32 v[5:6], v3 offset0:10 offset1:11
	s_waitcnt lgkmcnt(2)
	v_add_f32_e32 v2, v7, v0
	ds_load_2addr_stride64_b32 v[0:1], v3 offset0:8 offset1:9
	v_add_f32_e32 v2, v8, v2
	s_waitcnt lgkmcnt(2)
	s_delay_alu instid0(VALU_DEP_1) | instskip(NEXT) | instid1(VALU_DEP_1)
	v_add_f32_e32 v2, v9, v2
	v_add_f32_e32 v2, v10, v2
	ds_load_2addr_stride64_b32 v[7:8], v3 offset0:12 offset1:13
	ds_load_2addr_stride64_b32 v[9:10], v3 offset0:14 offset1:15
	s_waitcnt lgkmcnt(2)
	v_add_f32_e32 v0, v0, v2
	s_delay_alu instid0(VALU_DEP_1) | instskip(NEXT) | instid1(VALU_DEP_1)
	v_add_f32_e32 v0, v1, v0
	v_add_f32_e32 v0, v5, v0
	v_ashrrev_i32_e32 v5, 31, v4
	s_delay_alu instid0(VALU_DEP_2) | instskip(SKIP_2) | instid1(VALU_DEP_2)
	v_add_f32_e32 v0, v6, v0
	v_mul_lo_u32 v6, v4, s3
	s_waitcnt lgkmcnt(1)
	v_add_f32_e32 v0, v7, v0
	s_delay_alu instid0(VALU_DEP_1) | instskip(SKIP_3) | instid1(VALU_DEP_3)
	v_add_f32_e32 v2, v8, v0
	v_mad_u64_u32 v[0:1], null, v4, s2, 0
	v_mul_lo_u32 v4, v5, s2
	s_waitcnt lgkmcnt(0)
	v_add_f32_e32 v2, v9, v2
	s_delay_alu instid0(VALU_DEP_1) | instskip(NEXT) | instid1(VALU_DEP_3)
	v_add_f32_e32 v5, v10, v2
	v_add3_u32 v1, v1, v6, v4
	s_delay_alu instid0(VALU_DEP_2)
	v_mul_f32_e32 v2, s6, v5
	ds_store_b32 v3, v5
	s_cbranch_vccnz .LBB11_35
; %bb.34:
	v_lshlrev_b64 v[3:4], 2, v[0:1]
	s_delay_alu instid0(VALU_DEP_1) | instskip(NEXT) | instid1(VALU_DEP_2)
	v_add_co_u32 v3, vcc_lo, s15, v3
	v_add_co_ci_u32_e32 v4, vcc_lo, s20, v4, vcc_lo
	global_load_b32 v3, v[3:4], off
	s_waitcnt vmcnt(0)
	v_fmac_f32_e32 v2, s7, v3
.LBB11_35:
	s_or_b32 s21, s21, exec_lo
.LBB11_36:
	s_or_b32 exec_lo, exec_lo, s0
.LBB11_37:
	s_and_saveexec_b32 s0, s21
	s_cbranch_execz .LBB11_39
; %bb.38:
	v_lshlrev_b64 v[0:1], 2, v[0:1]
	s_delay_alu instid0(VALU_DEP_1) | instskip(NEXT) | instid1(VALU_DEP_2)
	v_add_co_u32 v0, vcc_lo, s15, v0
	v_add_co_ci_u32_e32 v1, vcc_lo, s20, v1, vcc_lo
	global_store_b32 v[0:1], v2, off
.LBB11_39:
	s_nop 0
	s_sendmsg sendmsg(MSG_DEALLOC_VGPRS)
	s_endpgm
	.section	.rodata,"a",@progbits
	.p2align	6, 0x0
	.amdhsa_kernel _ZL19rocblas_sbmv_kernelILb0ELi64ELi16EfPKPKfPKPfEviiT2_lT3_lllS8_lllS7_lT4_llli
		.amdhsa_group_segment_fixed_size 4096
		.amdhsa_private_segment_fixed_size 0
		.amdhsa_kernarg_size 400
		.amdhsa_user_sgpr_count 14
		.amdhsa_user_sgpr_dispatch_ptr 0
		.amdhsa_user_sgpr_queue_ptr 0
		.amdhsa_user_sgpr_kernarg_segment_ptr 1
		.amdhsa_user_sgpr_dispatch_id 0
		.amdhsa_user_sgpr_private_segment_size 0
		.amdhsa_wavefront_size32 1
		.amdhsa_uses_dynamic_stack 0
		.amdhsa_enable_private_segment 0
		.amdhsa_system_sgpr_workgroup_id_x 1
		.amdhsa_system_sgpr_workgroup_id_y 0
		.amdhsa_system_sgpr_workgroup_id_z 1
		.amdhsa_system_sgpr_workgroup_info 0
		.amdhsa_system_vgpr_workitem_id 1
		.amdhsa_next_free_vgpr 20
		.amdhsa_next_free_sgpr 28
		.amdhsa_reserve_vcc 1
		.amdhsa_float_round_mode_32 0
		.amdhsa_float_round_mode_16_64 0
		.amdhsa_float_denorm_mode_32 3
		.amdhsa_float_denorm_mode_16_64 3
		.amdhsa_dx10_clamp 1
		.amdhsa_ieee_mode 1
		.amdhsa_fp16_overflow 0
		.amdhsa_workgroup_processor_mode 1
		.amdhsa_memory_ordered 1
		.amdhsa_forward_progress 0
		.amdhsa_shared_vgpr_count 0
		.amdhsa_exception_fp_ieee_invalid_op 0
		.amdhsa_exception_fp_denorm_src 0
		.amdhsa_exception_fp_ieee_div_zero 0
		.amdhsa_exception_fp_ieee_overflow 0
		.amdhsa_exception_fp_ieee_underflow 0
		.amdhsa_exception_fp_ieee_inexact 0
		.amdhsa_exception_int_div_zero 0
	.end_amdhsa_kernel
	.section	.text._ZL19rocblas_sbmv_kernelILb0ELi64ELi16EfPKPKfPKPfEviiT2_lT3_lllS8_lllS7_lT4_llli,"axG",@progbits,_ZL19rocblas_sbmv_kernelILb0ELi64ELi16EfPKPKfPKPfEviiT2_lT3_lllS8_lllS7_lT4_llli,comdat
.Lfunc_end11:
	.size	_ZL19rocblas_sbmv_kernelILb0ELi64ELi16EfPKPKfPKPfEviiT2_lT3_lllS8_lllS7_lT4_llli, .Lfunc_end11-_ZL19rocblas_sbmv_kernelILb0ELi64ELi16EfPKPKfPKPfEviiT2_lT3_lllS8_lllS7_lT4_llli
                                        ; -- End function
	.section	.AMDGPU.csdata,"",@progbits
; Kernel info:
; codeLenInByte = 1672
; NumSgprs: 30
; NumVgprs: 20
; ScratchSize: 0
; MemoryBound: 0
; FloatMode: 240
; IeeeMode: 1
; LDSByteSize: 4096 bytes/workgroup (compile time only)
; SGPRBlocks: 3
; VGPRBlocks: 2
; NumSGPRsForWavesPerEU: 30
; NumVGPRsForWavesPerEU: 20
; Occupancy: 16
; WaveLimiterHint : 1
; COMPUTE_PGM_RSRC2:SCRATCH_EN: 0
; COMPUTE_PGM_RSRC2:USER_SGPR: 14
; COMPUTE_PGM_RSRC2:TRAP_HANDLER: 0
; COMPUTE_PGM_RSRC2:TGID_X_EN: 1
; COMPUTE_PGM_RSRC2:TGID_Y_EN: 0
; COMPUTE_PGM_RSRC2:TGID_Z_EN: 1
; COMPUTE_PGM_RSRC2:TIDIG_COMP_CNT: 1
	.section	.text._ZL19rocblas_sbmv_kernelILb1ELi64ELi16EPKdPKS1_PKPdEviiT2_lT3_lllS8_lllS7_lT4_llli,"axG",@progbits,_ZL19rocblas_sbmv_kernelILb1ELi64ELi16EPKdPKS1_PKPdEviiT2_lT3_lllS8_lllS7_lT4_llli,comdat
	.globl	_ZL19rocblas_sbmv_kernelILb1ELi64ELi16EPKdPKS1_PKPdEviiT2_lT3_lllS8_lllS7_lT4_llli ; -- Begin function _ZL19rocblas_sbmv_kernelILb1ELi64ELi16EPKdPKS1_PKPdEviiT2_lT3_lllS8_lllS7_lT4_llli
	.p2align	8
	.type	_ZL19rocblas_sbmv_kernelILb1ELi64ELi16EPKdPKS1_PKPdEviiT2_lT3_lllS8_lllS7_lT4_llli,@function
_ZL19rocblas_sbmv_kernelILb1ELi64ELi16EPKdPKS1_PKPdEviiT2_lT3_lllS8_lllS7_lT4_llli: ; @_ZL19rocblas_sbmv_kernelILb1ELi64ELi16EPKdPKS1_PKPdEviiT2_lT3_lllS8_lllS7_lT4_llli
; %bb.0:
	s_load_b64 s[2:3], s[0:1], 0x9c
	s_mov_b32 s28, s15
	s_waitcnt lgkmcnt(0)
	s_lshr_b32 s4, s2, 16
	s_and_b32 s15, s2, 0xffff
	s_and_b32 s2, s3, 0xffff
	s_mul_i32 s3, s4, s15
	s_delay_alu instid0(SALU_CYCLE_1) | instskip(NEXT) | instid1(SALU_CYCLE_1)
	s_mul_i32 s3, s3, s2
	s_cmpk_lg_i32 s3, 0x400
	s_cbranch_scc1 .LBB12_37
; %bb.1:
	s_clause 0x1
	s_load_b256 s[16:23], s[0:1], 0x8
	s_load_b256 s[4:11], s[0:1], 0x58
	s_mov_b64 s[26:27], 0
	s_waitcnt lgkmcnt(0)
	s_mul_i32 s3, s28, s19
	s_mul_hi_u32 s12, s28, s18
	s_mul_i32 s2, s28, s18
	s_add_i32 s3, s12, s3
	s_mul_i32 s7, s28, s7
	s_lshl_b64 s[2:3], s[2:3], 3
	s_mul_hi_u32 s12, s28, s6
	s_add_u32 s2, s16, s2
	s_addc_u32 s3, s17, s3
	s_add_i32 s7, s12, s7
	s_mul_i32 s6, s28, s6
	s_delay_alu instid0(SALU_CYCLE_1) | instskip(NEXT) | instid1(SALU_CYCLE_1)
	s_lshl_b64 s[6:7], s[6:7], 3
	s_add_u32 s4, s4, s6
	s_addc_u32 s5, s5, s7
	s_load_b64 s[12:13], s[2:3], 0x0
	s_load_b64 s[2:3], s[4:5], 0x0
	s_waitcnt lgkmcnt(0)
	v_cmp_eq_f64_e64 s30, s[12:13], 0
	v_cmp_eq_f64_e64 s4, s[2:3], 1.0
	s_delay_alu instid0(VALU_DEP_1) | instskip(NEXT) | instid1(SALU_CYCLE_1)
	s_and_b32 s4, s30, s4
	s_and_b32 vcc_lo, exec_lo, s4
	s_cbranch_vccnz .LBB12_37
; %bb.2:
	v_cmp_neq_f64_e64 s31, s[12:13], 0
	s_clause 0x1
	s_load_b64 s[24:25], s[0:1], 0x28
	s_load_b64 s[16:17], s[0:1], 0x78
	s_and_b32 vcc_lo, exec_lo, s30
	s_mov_b32 s29, 0
	s_cbranch_vccnz .LBB12_4
; %bb.3:
	s_lshl_b64 s[4:5], s[28:29], 3
	s_delay_alu instid0(SALU_CYCLE_1)
	s_add_u32 s4, s20, s4
	s_addc_u32 s5, s21, s5
	s_lshl_b64 s[6:7], s[22:23], 3
	s_load_b64 s[4:5], s[4:5], 0x0
	s_waitcnt lgkmcnt(0)
	s_add_u32 s26, s4, s6
	s_addc_u32 s27, s5, s7
.LBB12_4:
	s_clause 0x1
	s_load_b128 s[4:7], s[0:1], 0x38
	s_load_b64 s[18:19], s[0:1], 0x48
	s_delay_alu instid0(VALU_DEP_1)
	s_and_not1_b32 vcc_lo, exec_lo, s31
	s_cbranch_vccnz .LBB12_6
; %bb.5:
	s_lshl_b64 s[20:21], s[28:29], 3
	s_waitcnt lgkmcnt(0)
	s_add_u32 s4, s4, s20
	s_addc_u32 s5, s5, s21
	s_lshl_b64 s[6:7], s[6:7], 3
	s_load_b64 s[4:5], s[4:5], 0x0
	s_waitcnt lgkmcnt(0)
	s_add_u32 s4, s4, s6
	s_addc_u32 s5, s5, s7
	s_branch .LBB12_7
.LBB12_6:
	s_waitcnt lgkmcnt(0)
	s_mov_b64 s[4:5], 0
.LBB12_7:
	s_lshl_b64 s[6:7], s[28:29], 3
	v_and_b32_e32 v1, 0x3ff, v0
	s_add_u32 s6, s8, s6
	s_addc_u32 s7, s9, s7
	v_bfe_u32 v0, v0, 10, 10
	s_load_b64 s[8:9], s[6:7], 0x0
	s_load_b64 s[6:7], s[0:1], 0x0
	s_lshl_b64 s[10:11], s[10:11], 3
	s_delay_alu instid0(VALU_DEP_1) | instskip(NEXT) | instid1(VALU_DEP_1)
	v_mad_u32_u24 v12, v0, s15, v1
	v_cmp_gt_u32_e64 s0, 64, v12
	s_waitcnt lgkmcnt(0)
	s_add_u32 s10, s8, s10
	s_addc_u32 s11, s9, s11
	s_and_not1_b32 vcc_lo, exec_lo, s30
	s_cbranch_vccnz .LBB12_12
; %bb.8:
	v_lshl_add_u32 v4, s14, 6, v12
	s_mov_b32 s1, 0
	s_mov_b32 s15, 0
                                        ; implicit-def: $vgpr2_vgpr3
                                        ; implicit-def: $vgpr0_vgpr1
	s_delay_alu instid0(VALU_DEP_1) | instskip(SKIP_1) | instid1(SALU_CYCLE_1)
	v_cmp_gt_i32_e32 vcc_lo, s6, v4
	s_and_b32 s8, s0, vcc_lo
	s_and_saveexec_b32 s0, s8
	s_cbranch_execz .LBB12_13
; %bb.9:
	v_cmp_eq_f64_e64 s8, s[2:3], 0
	v_ashrrev_i32_e32 v0, 31, v4
	v_mul_lo_u32 v2, v4, s17
	s_delay_alu instid0(VALU_DEP_2) | instskip(SKIP_1) | instid1(VALU_DEP_1)
	v_mul_lo_u32 v3, v0, s16
	v_mad_u64_u32 v[0:1], null, v4, s16, 0
	v_add3_u32 v1, v1, v2, v3
	v_mov_b32_e32 v2, 0
	v_mov_b32_e32 v3, 0
	s_and_b32 vcc_lo, exec_lo, s8
	s_cbranch_vccnz .LBB12_11
; %bb.10:
	s_delay_alu instid0(VALU_DEP_4) | instskip(NEXT) | instid1(VALU_DEP_1)
	v_lshlrev_b64 v[2:3], 3, v[0:1]
	v_add_co_u32 v2, vcc_lo, s10, v2
	s_delay_alu instid0(VALU_DEP_2)
	v_add_co_ci_u32_e32 v3, vcc_lo, s11, v3, vcc_lo
	global_load_b64 v[2:3], v[2:3], off
	s_waitcnt vmcnt(0)
	v_mul_f64 v[2:3], s[2:3], v[2:3]
.LBB12_11:
	s_mov_b32 s15, exec_lo
	s_or_b32 exec_lo, exec_lo, s0
	s_delay_alu instid0(SALU_CYCLE_1)
	s_and_b32 vcc_lo, exec_lo, s1
	s_cbranch_vccnz .LBB12_14
	s_branch .LBB12_35
.LBB12_12:
	s_mov_b32 s15, 0
                                        ; implicit-def: $vgpr2_vgpr3
                                        ; implicit-def: $vgpr0_vgpr1
	s_cbranch_execnz .LBB12_14
	s_branch .LBB12_35
.LBB12_13:
	s_or_b32 exec_lo, exec_lo, s0
	s_delay_alu instid0(SALU_CYCLE_1)
	s_and_b32 vcc_lo, exec_lo, s1
	s_cbranch_vccz .LBB12_35
.LBB12_14:
	v_mov_b32_e32 v2, 0
	v_lshrrev_b32_e32 v0, 6, v12
	v_mov_b32_e32 v3, 0
	s_lshl_b32 s14, s14, 6
	s_mov_b32 s20, exec_lo
	s_delay_alu instid0(VALU_DEP_2)
	v_cmpx_gt_i32_e64 s6, v0
	s_cbranch_execz .LBB12_30
; %bb.15:
	v_mad_u64_u32 v[6:7], null, s24, v0, 0
	v_and_b32_e32 v4, 63, v12
	s_ashr_i32 s0, s14, 31
	v_mov_b32_e32 v5, 0
	s_mul_i32 s0, s0, s24
	s_mov_b32 s21, 0
	s_lshl_b64 s[8:9], s[24:25], 7
	s_delay_alu instid0(VALU_DEP_3) | instskip(SKIP_1) | instid1(VALU_DEP_2)
	v_mov_b32_e32 v1, v7
	v_or_b32_e32 v13, s14, v4
	v_mad_u64_u32 v[10:11], null, s25, v0, v[1:2]
	v_mov_b32_e32 v2, 0
	s_delay_alu instid0(VALU_DEP_3)
	v_mul_lo_u32 v7, v13, s25
	v_mad_u64_u32 v[8:9], null, v13, s24, 0
	v_mov_b32_e32 v1, v5
	v_sub_nc_u32_e32 v11, s7, v4
	v_add3_u32 v4, s7, s14, v4
	v_mov_b32_e32 v3, 0
	v_cmp_gt_i32_e32 vcc_lo, s6, v13
	v_add3_u32 v9, v9, v7, s0
	v_mov_b32_e32 v7, v10
	v_subrev_nc_u32_e32 v14, s14, v11
	v_sub_nc_u32_e32 v4, v4, v0
	s_delay_alu instid0(VALU_DEP_4) | instskip(NEXT) | instid1(VALU_DEP_4)
	v_lshlrev_b64 v[8:9], 3, v[8:9]
	v_lshlrev_b64 v[6:7], 3, v[6:7]
	s_delay_alu instid0(VALU_DEP_2) | instskip(NEXT) | instid1(VALU_DEP_1)
	v_add_co_u32 v15, s0, s26, v8
	v_add_co_ci_u32_e64 v16, s0, s27, v9, s0
	s_delay_alu instid0(VALU_DEP_3) | instskip(NEXT) | instid1(VALU_DEP_1)
	v_add_co_u32 v17, s0, s26, v6
	v_add_co_ci_u32_e64 v18, s0, s27, v7, s0
	v_dual_mov_b32 v7, v1 :: v_dual_mov_b32 v6, v0
	s_branch .LBB12_18
.LBB12_16:                              ;   in Loop: Header=BB12_18 Depth=1
	s_or_b32 exec_lo, exec_lo, s1
.LBB12_17:                              ;   in Loop: Header=BB12_18 Depth=1
	s_delay_alu instid0(SALU_CYCLE_1) | instskip(SKIP_1) | instid1(VALU_DEP_1)
	s_or_b32 exec_lo, exec_lo, s22
	v_add_co_u32 v6, s0, v6, 16
	v_add_co_ci_u32_e64 v7, s0, 0, v7, s0
	v_add_co_u32 v17, s1, v17, s8
	s_delay_alu instid0(VALU_DEP_3) | instskip(SKIP_3) | instid1(VALU_DEP_4)
	v_cmp_le_i32_e64 s0, s6, v6
	v_add_nc_u32_e32 v0, 16, v0
	v_add_co_ci_u32_e64 v18, s1, s9, v18, s1
	v_add_nc_u32_e32 v4, -16, v4
	s_or_b32 s21, s0, s21
	s_delay_alu instid0(SALU_CYCLE_1)
	s_and_not1_b32 exec_lo, exec_lo, s21
	s_cbranch_execz .LBB12_29
.LBB12_18:                              ; =>This Inner Loop Header: Depth=1
	s_and_saveexec_b32 s22, vcc_lo
	s_cbranch_execz .LBB12_17
; %bb.19:                               ;   in Loop: Header=BB12_18 Depth=1
	s_mov_b32 s23, 0
                                        ; implicit-def: $vgpr8_vgpr9
                                        ; implicit-def: $vgpr10_vgpr11
	s_mov_b32 s1, exec_lo
	v_cmpx_ge_i32_e64 v6, v13
	s_xor_b32 s24, exec_lo, s1
	s_cbranch_execnz .LBB12_22
; %bb.20:                               ;   in Loop: Header=BB12_18 Depth=1
	s_and_not1_saveexec_b32 s24, s24
	s_cbranch_execnz .LBB12_25
.LBB12_21:                              ;   in Loop: Header=BB12_18 Depth=1
	s_or_b32 exec_lo, exec_lo, s24
	s_and_saveexec_b32 s1, s23
	s_cbranch_execz .LBB12_16
	s_branch .LBB12_28
.LBB12_22:                              ;   in Loop: Header=BB12_18 Depth=1
	v_cmp_ge_i32_e64 s0, s7, v4
	v_cmp_lt_i32_e64 s1, -1, v4
                                        ; implicit-def: $vgpr8_vgpr9
                                        ; implicit-def: $vgpr10_vgpr11
	s_delay_alu instid0(VALU_DEP_1) | instskip(SKIP_2) | instid1(SALU_CYCLE_1)
	s_and_b32 s0, s0, s1
	s_mov_b32 s1, 0
	s_and_saveexec_b32 s23, s0
	s_xor_b32 s23, exec_lo, s23
; %bb.23:                               ;   in Loop: Header=BB12_18 Depth=1
	v_lshlrev_b64 v[8:9], 3, v[4:5]
	v_mov_b32_e32 v1, v5
	s_mov_b32 s1, exec_lo
	s_delay_alu instid0(VALU_DEP_1) | instskip(NEXT) | instid1(VALU_DEP_3)
	v_dual_mov_b32 v11, v1 :: v_dual_mov_b32 v10, v0
	v_add_co_u32 v8, s0, v17, v8
	s_delay_alu instid0(VALU_DEP_1)
	v_add_co_ci_u32_e64 v9, s0, v18, v9, s0
; %bb.24:                               ;   in Loop: Header=BB12_18 Depth=1
	s_or_b32 exec_lo, exec_lo, s23
	s_delay_alu instid0(SALU_CYCLE_1)
	s_and_b32 s23, s1, exec_lo
	s_and_not1_saveexec_b32 s24, s24
	s_cbranch_execz .LBB12_21
.LBB12_25:                              ;   in Loop: Header=BB12_18 Depth=1
	v_add_nc_u32_e32 v10, v14, v6
                                        ; implicit-def: $vgpr8_vgpr9
	s_delay_alu instid0(VALU_DEP_1) | instskip(SKIP_1) | instid1(VALU_DEP_1)
	v_cmp_ge_i32_e64 s0, s7, v10
	v_cmp_lt_i32_e64 s1, -1, v10
	s_and_b32 s25, s0, s1
	s_mov_b32 s0, s23
	s_and_saveexec_b32 s1, s25
; %bb.26:                               ;   in Loop: Header=BB12_18 Depth=1
	v_mov_b32_e32 v11, v5
	s_delay_alu instid0(VALU_DEP_1) | instskip(NEXT) | instid1(VALU_DEP_1)
	v_lshlrev_b64 v[8:9], 3, v[10:11]
	v_add_co_u32 v8, s0, v15, v8
	s_delay_alu instid0(VALU_DEP_1)
	v_add_co_ci_u32_e64 v9, s0, v16, v9, s0
	s_or_b32 s0, s23, exec_lo
; %bb.27:                               ;   in Loop: Header=BB12_18 Depth=1
	s_or_b32 exec_lo, exec_lo, s1
	v_dual_mov_b32 v11, v7 :: v_dual_mov_b32 v10, v6
	s_and_not1_b32 s1, s23, exec_lo
	s_and_b32 s0, s0, exec_lo
	s_delay_alu instid0(SALU_CYCLE_1)
	s_or_b32 s23, s1, s0
	s_or_b32 exec_lo, exec_lo, s24
	s_and_saveexec_b32 s1, s23
	s_cbranch_execz .LBB12_16
.LBB12_28:                              ;   in Loop: Header=BB12_18 Depth=1
	v_mul_lo_u32 v1, v11, s18
	v_mul_lo_u32 v11, v10, s19
	v_mad_u64_u32 v[19:20], null, v10, s18, 0
	s_delay_alu instid0(VALU_DEP_1) | instskip(NEXT) | instid1(VALU_DEP_1)
	v_add3_u32 v20, v20, v11, v1
	v_lshlrev_b64 v[10:11], 3, v[19:20]
	s_delay_alu instid0(VALU_DEP_1) | instskip(NEXT) | instid1(VALU_DEP_1)
	v_add_co_u32 v10, s0, s4, v10
	v_add_co_ci_u32_e64 v11, s0, s5, v11, s0
	flat_load_b64 v[8:9], v[8:9]
	flat_load_b64 v[10:11], v[10:11]
	s_waitcnt vmcnt(0) lgkmcnt(0)
	v_fma_f64 v[2:3], v[8:9], v[10:11], v[2:3]
	s_branch .LBB12_16
.LBB12_29:
	s_or_b32 exec_lo, exec_lo, s21
.LBB12_30:
	s_delay_alu instid0(SALU_CYCLE_1) | instskip(SKIP_3) | instid1(VALU_DEP_3)
	s_or_b32 exec_lo, exec_lo, s20
	v_add_nc_u32_e32 v5, s14, v12
	v_cmp_gt_u32_e32 vcc_lo, 64, v12
	v_lshlrev_b32_e32 v4, 3, v12
                                        ; implicit-def: $vgpr0_vgpr1
	v_cmp_gt_i32_e64 s0, s6, v5
	ds_store_b64 v4, v[2:3]
	s_waitcnt lgkmcnt(0)
	s_barrier
	s_and_b32 s1, vcc_lo, s0
	buffer_gl0_inv
                                        ; implicit-def: $vgpr2_vgpr3
	s_and_saveexec_b32 s0, s1
	s_cbranch_execz .LBB12_34
; %bb.31:
	ds_load_2addr_stride64_b64 v[0:3], v4 offset1:1
	ds_load_2addr_stride64_b64 v[6:9], v4 offset0:2 offset1:3
	v_cmp_eq_f64_e64 s1, s[2:3], 0
	s_waitcnt lgkmcnt(1)
	v_add_f64 v[0:1], v[0:1], v[2:3]
	s_delay_alu instid0(VALU_DEP_2) | instskip(SKIP_1) | instid1(VALU_DEP_1)
	s_and_b32 vcc_lo, exec_lo, s1
	s_waitcnt lgkmcnt(0)
	v_add_f64 v[0:1], v[6:7], v[0:1]
	s_delay_alu instid0(VALU_DEP_1) | instskip(SKIP_4) | instid1(VALU_DEP_1)
	v_add_f64 v[10:11], v[8:9], v[0:1]
	ds_load_2addr_stride64_b64 v[0:3], v4 offset0:4 offset1:5
	ds_load_2addr_stride64_b64 v[6:9], v4 offset0:6 offset1:7
	s_waitcnt lgkmcnt(1)
	v_add_f64 v[0:1], v[0:1], v[10:11]
	v_add_f64 v[0:1], v[2:3], v[0:1]
	s_waitcnt lgkmcnt(0)
	s_delay_alu instid0(VALU_DEP_1) | instskip(NEXT) | instid1(VALU_DEP_1)
	v_add_f64 v[0:1], v[6:7], v[0:1]
	v_add_f64 v[10:11], v[8:9], v[0:1]
	ds_load_2addr_stride64_b64 v[0:3], v4 offset0:8 offset1:9
	ds_load_2addr_stride64_b64 v[6:9], v4 offset0:10 offset1:11
	s_waitcnt lgkmcnt(1)
	v_add_f64 v[0:1], v[0:1], v[10:11]
	s_delay_alu instid0(VALU_DEP_1) | instskip(SKIP_1) | instid1(VALU_DEP_1)
	v_add_f64 v[0:1], v[2:3], v[0:1]
	s_waitcnt lgkmcnt(0)
	v_add_f64 v[0:1], v[6:7], v[0:1]
	s_delay_alu instid0(VALU_DEP_1) | instskip(SKIP_4) | instid1(VALU_DEP_1)
	v_add_f64 v[10:11], v[8:9], v[0:1]
	ds_load_2addr_stride64_b64 v[0:3], v4 offset0:12 offset1:13
	ds_load_2addr_stride64_b64 v[6:9], v4 offset0:14 offset1:15
	s_waitcnt lgkmcnt(1)
	v_add_f64 v[0:1], v[0:1], v[10:11]
	v_add_f64 v[0:1], v[2:3], v[0:1]
	s_waitcnt lgkmcnt(0)
	s_delay_alu instid0(VALU_DEP_1) | instskip(NEXT) | instid1(VALU_DEP_1)
	v_add_f64 v[0:1], v[6:7], v[0:1]
	v_add_f64 v[6:7], v[8:9], v[0:1]
	v_ashrrev_i32_e32 v0, 31, v5
	v_mul_lo_u32 v8, v5, s17
	s_delay_alu instid0(VALU_DEP_2) | instskip(SKIP_1) | instid1(VALU_DEP_1)
	v_mul_lo_u32 v9, v0, s16
	v_mad_u64_u32 v[0:1], null, v5, s16, 0
	v_add3_u32 v1, v1, v8, v9
	v_mul_f64 v[2:3], s[12:13], v[6:7]
	ds_store_b64 v4, v[6:7]
	s_cbranch_vccnz .LBB12_33
; %bb.32:
	v_lshlrev_b64 v[4:5], 3, v[0:1]
	s_delay_alu instid0(VALU_DEP_1) | instskip(NEXT) | instid1(VALU_DEP_2)
	v_add_co_u32 v4, vcc_lo, s10, v4
	v_add_co_ci_u32_e32 v5, vcc_lo, s11, v5, vcc_lo
	global_load_b64 v[4:5], v[4:5], off
	s_waitcnt vmcnt(0)
	v_fma_f64 v[2:3], s[2:3], v[4:5], v[2:3]
.LBB12_33:
	s_or_b32 s15, s15, exec_lo
.LBB12_34:
	s_or_b32 exec_lo, exec_lo, s0
.LBB12_35:
	s_and_saveexec_b32 s0, s15
	s_cbranch_execz .LBB12_37
; %bb.36:
	v_lshlrev_b64 v[0:1], 3, v[0:1]
	s_delay_alu instid0(VALU_DEP_1) | instskip(NEXT) | instid1(VALU_DEP_2)
	v_add_co_u32 v0, vcc_lo, s10, v0
	v_add_co_ci_u32_e32 v1, vcc_lo, s11, v1, vcc_lo
	global_store_b64 v[0:1], v[2:3], off
.LBB12_37:
	s_nop 0
	s_sendmsg sendmsg(MSG_DEALLOC_VGPRS)
	s_endpgm
	.section	.rodata,"a",@progbits
	.p2align	6, 0x0
	.amdhsa_kernel _ZL19rocblas_sbmv_kernelILb1ELi64ELi16EPKdPKS1_PKPdEviiT2_lT3_lllS8_lllS7_lT4_llli
		.amdhsa_group_segment_fixed_size 8192
		.amdhsa_private_segment_fixed_size 0
		.amdhsa_kernarg_size 400
		.amdhsa_user_sgpr_count 14
		.amdhsa_user_sgpr_dispatch_ptr 0
		.amdhsa_user_sgpr_queue_ptr 0
		.amdhsa_user_sgpr_kernarg_segment_ptr 1
		.amdhsa_user_sgpr_dispatch_id 0
		.amdhsa_user_sgpr_private_segment_size 0
		.amdhsa_wavefront_size32 1
		.amdhsa_uses_dynamic_stack 0
		.amdhsa_enable_private_segment 0
		.amdhsa_system_sgpr_workgroup_id_x 1
		.amdhsa_system_sgpr_workgroup_id_y 0
		.amdhsa_system_sgpr_workgroup_id_z 1
		.amdhsa_system_sgpr_workgroup_info 0
		.amdhsa_system_vgpr_workitem_id 1
		.amdhsa_next_free_vgpr 21
		.amdhsa_next_free_sgpr 32
		.amdhsa_reserve_vcc 1
		.amdhsa_float_round_mode_32 0
		.amdhsa_float_round_mode_16_64 0
		.amdhsa_float_denorm_mode_32 3
		.amdhsa_float_denorm_mode_16_64 3
		.amdhsa_dx10_clamp 1
		.amdhsa_ieee_mode 1
		.amdhsa_fp16_overflow 0
		.amdhsa_workgroup_processor_mode 1
		.amdhsa_memory_ordered 1
		.amdhsa_forward_progress 0
		.amdhsa_shared_vgpr_count 0
		.amdhsa_exception_fp_ieee_invalid_op 0
		.amdhsa_exception_fp_denorm_src 0
		.amdhsa_exception_fp_ieee_div_zero 0
		.amdhsa_exception_fp_ieee_overflow 0
		.amdhsa_exception_fp_ieee_underflow 0
		.amdhsa_exception_fp_ieee_inexact 0
		.amdhsa_exception_int_div_zero 0
	.end_amdhsa_kernel
	.section	.text._ZL19rocblas_sbmv_kernelILb1ELi64ELi16EPKdPKS1_PKPdEviiT2_lT3_lllS8_lllS7_lT4_llli,"axG",@progbits,_ZL19rocblas_sbmv_kernelILb1ELi64ELi16EPKdPKS1_PKPdEviiT2_lT3_lllS8_lllS7_lT4_llli,comdat
.Lfunc_end12:
	.size	_ZL19rocblas_sbmv_kernelILb1ELi64ELi16EPKdPKS1_PKPdEviiT2_lT3_lllS8_lllS7_lT4_llli, .Lfunc_end12-_ZL19rocblas_sbmv_kernelILb1ELi64ELi16EPKdPKS1_PKPdEviiT2_lT3_lllS8_lllS7_lT4_llli
                                        ; -- End function
	.section	.AMDGPU.csdata,"",@progbits
; Kernel info:
; codeLenInByte = 1812
; NumSgprs: 34
; NumVgprs: 21
; ScratchSize: 0
; MemoryBound: 1
; FloatMode: 240
; IeeeMode: 1
; LDSByteSize: 8192 bytes/workgroup (compile time only)
; SGPRBlocks: 4
; VGPRBlocks: 2
; NumSGPRsForWavesPerEU: 34
; NumVGPRsForWavesPerEU: 21
; Occupancy: 16
; WaveLimiterHint : 1
; COMPUTE_PGM_RSRC2:SCRATCH_EN: 0
; COMPUTE_PGM_RSRC2:USER_SGPR: 14
; COMPUTE_PGM_RSRC2:TRAP_HANDLER: 0
; COMPUTE_PGM_RSRC2:TGID_X_EN: 1
; COMPUTE_PGM_RSRC2:TGID_Y_EN: 0
; COMPUTE_PGM_RSRC2:TGID_Z_EN: 1
; COMPUTE_PGM_RSRC2:TIDIG_COMP_CNT: 1
	.section	.text._ZL19rocblas_sbmv_kernelILb0ELi64ELi16EPKdPKS1_PKPdEviiT2_lT3_lllS8_lllS7_lT4_llli,"axG",@progbits,_ZL19rocblas_sbmv_kernelILb0ELi64ELi16EPKdPKS1_PKPdEviiT2_lT3_lllS8_lllS7_lT4_llli,comdat
	.globl	_ZL19rocblas_sbmv_kernelILb0ELi64ELi16EPKdPKS1_PKPdEviiT2_lT3_lllS8_lllS7_lT4_llli ; -- Begin function _ZL19rocblas_sbmv_kernelILb0ELi64ELi16EPKdPKS1_PKPdEviiT2_lT3_lllS8_lllS7_lT4_llli
	.p2align	8
	.type	_ZL19rocblas_sbmv_kernelILb0ELi64ELi16EPKdPKS1_PKPdEviiT2_lT3_lllS8_lllS7_lT4_llli,@function
_ZL19rocblas_sbmv_kernelILb0ELi64ELi16EPKdPKS1_PKPdEviiT2_lT3_lllS8_lllS7_lT4_llli: ; @_ZL19rocblas_sbmv_kernelILb0ELi64ELi16EPKdPKS1_PKPdEviiT2_lT3_lllS8_lllS7_lT4_llli
; %bb.0:
	s_load_b64 s[2:3], s[0:1], 0x9c
	s_mov_b32 s28, s15
	s_waitcnt lgkmcnt(0)
	s_lshr_b32 s4, s2, 16
	s_and_b32 s15, s2, 0xffff
	s_and_b32 s2, s3, 0xffff
	s_mul_i32 s3, s4, s15
	s_delay_alu instid0(SALU_CYCLE_1) | instskip(NEXT) | instid1(SALU_CYCLE_1)
	s_mul_i32 s3, s3, s2
	s_cmpk_lg_i32 s3, 0x400
	s_cbranch_scc1 .LBB13_37
; %bb.1:
	s_clause 0x1
	s_load_b256 s[16:23], s[0:1], 0x8
	s_load_b256 s[4:11], s[0:1], 0x58
	s_mov_b64 s[26:27], 0
	s_waitcnt lgkmcnt(0)
	s_mul_i32 s3, s28, s19
	s_mul_hi_u32 s12, s28, s18
	s_mul_i32 s2, s28, s18
	s_add_i32 s3, s12, s3
	s_mul_i32 s7, s28, s7
	s_lshl_b64 s[2:3], s[2:3], 3
	s_mul_hi_u32 s12, s28, s6
	s_add_u32 s2, s16, s2
	s_addc_u32 s3, s17, s3
	s_add_i32 s7, s12, s7
	s_mul_i32 s6, s28, s6
	s_delay_alu instid0(SALU_CYCLE_1) | instskip(NEXT) | instid1(SALU_CYCLE_1)
	s_lshl_b64 s[6:7], s[6:7], 3
	s_add_u32 s4, s4, s6
	s_addc_u32 s5, s5, s7
	s_load_b64 s[12:13], s[2:3], 0x0
	s_load_b64 s[2:3], s[4:5], 0x0
	s_waitcnt lgkmcnt(0)
	v_cmp_eq_f64_e64 s30, s[12:13], 0
	v_cmp_eq_f64_e64 s4, s[2:3], 1.0
	s_delay_alu instid0(VALU_DEP_1) | instskip(NEXT) | instid1(SALU_CYCLE_1)
	s_and_b32 s4, s30, s4
	s_and_b32 vcc_lo, exec_lo, s4
	s_cbranch_vccnz .LBB13_37
; %bb.2:
	v_cmp_neq_f64_e64 s31, s[12:13], 0
	s_clause 0x1
	s_load_b64 s[24:25], s[0:1], 0x28
	s_load_b64 s[16:17], s[0:1], 0x78
	s_and_b32 vcc_lo, exec_lo, s30
	s_mov_b32 s29, 0
	s_cbranch_vccnz .LBB13_4
; %bb.3:
	s_lshl_b64 s[4:5], s[28:29], 3
	s_delay_alu instid0(SALU_CYCLE_1)
	s_add_u32 s4, s20, s4
	s_addc_u32 s5, s21, s5
	s_lshl_b64 s[6:7], s[22:23], 3
	s_load_b64 s[4:5], s[4:5], 0x0
	s_waitcnt lgkmcnt(0)
	s_add_u32 s26, s4, s6
	s_addc_u32 s27, s5, s7
.LBB13_4:
	s_clause 0x1
	s_load_b128 s[4:7], s[0:1], 0x38
	s_load_b64 s[18:19], s[0:1], 0x48
	s_delay_alu instid0(VALU_DEP_1)
	s_and_not1_b32 vcc_lo, exec_lo, s31
	s_cbranch_vccnz .LBB13_6
; %bb.5:
	s_lshl_b64 s[20:21], s[28:29], 3
	s_waitcnt lgkmcnt(0)
	s_add_u32 s4, s4, s20
	s_addc_u32 s5, s5, s21
	s_lshl_b64 s[6:7], s[6:7], 3
	s_load_b64 s[4:5], s[4:5], 0x0
	s_waitcnt lgkmcnt(0)
	s_add_u32 s4, s4, s6
	s_addc_u32 s5, s5, s7
	s_branch .LBB13_7
.LBB13_6:
	s_waitcnt lgkmcnt(0)
	s_mov_b64 s[4:5], 0
.LBB13_7:
	s_lshl_b64 s[6:7], s[28:29], 3
	v_and_b32_e32 v1, 0x3ff, v0
	s_add_u32 s6, s8, s6
	s_addc_u32 s7, s9, s7
	v_bfe_u32 v0, v0, 10, 10
	s_load_b64 s[8:9], s[6:7], 0x0
	s_load_b64 s[6:7], s[0:1], 0x0
	s_lshl_b64 s[10:11], s[10:11], 3
	s_delay_alu instid0(VALU_DEP_1) | instskip(NEXT) | instid1(VALU_DEP_1)
	v_mad_u32_u24 v12, v0, s15, v1
	v_cmp_gt_u32_e64 s0, 64, v12
	s_waitcnt lgkmcnt(0)
	s_add_u32 s10, s8, s10
	s_addc_u32 s11, s9, s11
	s_and_not1_b32 vcc_lo, exec_lo, s30
	s_cbranch_vccnz .LBB13_12
; %bb.8:
	v_lshl_add_u32 v4, s14, 6, v12
	s_mov_b32 s1, 0
	s_mov_b32 s15, 0
                                        ; implicit-def: $vgpr2_vgpr3
                                        ; implicit-def: $vgpr0_vgpr1
	s_delay_alu instid0(VALU_DEP_1) | instskip(SKIP_1) | instid1(SALU_CYCLE_1)
	v_cmp_gt_i32_e32 vcc_lo, s6, v4
	s_and_b32 s8, s0, vcc_lo
	s_and_saveexec_b32 s0, s8
	s_cbranch_execz .LBB13_13
; %bb.9:
	v_cmp_eq_f64_e64 s8, s[2:3], 0
	v_ashrrev_i32_e32 v0, 31, v4
	v_mul_lo_u32 v2, v4, s17
	s_delay_alu instid0(VALU_DEP_2) | instskip(SKIP_1) | instid1(VALU_DEP_1)
	v_mul_lo_u32 v3, v0, s16
	v_mad_u64_u32 v[0:1], null, v4, s16, 0
	v_add3_u32 v1, v1, v2, v3
	v_mov_b32_e32 v2, 0
	v_mov_b32_e32 v3, 0
	s_and_b32 vcc_lo, exec_lo, s8
	s_cbranch_vccnz .LBB13_11
; %bb.10:
	s_delay_alu instid0(VALU_DEP_4) | instskip(NEXT) | instid1(VALU_DEP_1)
	v_lshlrev_b64 v[2:3], 3, v[0:1]
	v_add_co_u32 v2, vcc_lo, s10, v2
	s_delay_alu instid0(VALU_DEP_2)
	v_add_co_ci_u32_e32 v3, vcc_lo, s11, v3, vcc_lo
	global_load_b64 v[2:3], v[2:3], off
	s_waitcnt vmcnt(0)
	v_mul_f64 v[2:3], s[2:3], v[2:3]
.LBB13_11:
	s_mov_b32 s15, exec_lo
	s_or_b32 exec_lo, exec_lo, s0
	s_delay_alu instid0(SALU_CYCLE_1)
	s_and_b32 vcc_lo, exec_lo, s1
	s_cbranch_vccnz .LBB13_14
	s_branch .LBB13_35
.LBB13_12:
	s_mov_b32 s15, 0
                                        ; implicit-def: $vgpr2_vgpr3
                                        ; implicit-def: $vgpr0_vgpr1
	s_cbranch_execnz .LBB13_14
	s_branch .LBB13_35
.LBB13_13:
	s_or_b32 exec_lo, exec_lo, s0
	s_delay_alu instid0(SALU_CYCLE_1)
	s_and_b32 vcc_lo, exec_lo, s1
	s_cbranch_vccz .LBB13_35
.LBB13_14:
	v_mov_b32_e32 v2, 0
	v_lshrrev_b32_e32 v0, 6, v12
	v_mov_b32_e32 v3, 0
	s_lshl_b32 s14, s14, 6
	s_mov_b32 s20, exec_lo
	s_delay_alu instid0(VALU_DEP_2)
	v_cmpx_gt_i32_e64 s6, v0
	s_cbranch_execz .LBB13_30
; %bb.15:
	v_mad_u64_u32 v[6:7], null, s24, v0, 0
	v_and_b32_e32 v10, 63, v12
	s_ashr_i32 s0, s14, 31
	s_mov_b32 s21, 0
	s_mul_i32 s0, s0, s24
	s_lshl_b64 s[8:9], s[24:25], 7
	s_delay_alu instid0(VALU_DEP_2) | instskip(SKIP_2) | instid1(VALU_DEP_2)
	v_mov_b32_e32 v1, v7
	v_or_b32_e32 v13, s14, v10
	v_add_nc_u32_e32 v10, s14, v10
	v_mul_lo_u32 v2, v13, s25
	v_mad_u64_u32 v[8:9], null, v13, s24, 0
	v_cmp_gt_i32_e32 vcc_lo, s6, v13
	s_delay_alu instid0(VALU_DEP_4) | instskip(NEXT) | instid1(VALU_DEP_4)
	v_sub_nc_u32_e32 v14, 0, v10
	v_mad_u64_u32 v[4:5], null, s25, v0, v[1:2]
	s_delay_alu instid0(VALU_DEP_4) | instskip(SKIP_2) | instid1(VALU_DEP_3)
	v_add3_u32 v9, v9, v2, s0
	v_dual_mov_b32 v5, 0 :: v_dual_mov_b32 v2, 0
	v_mov_b32_e32 v3, 0
	v_lshlrev_b64 v[8:9], 3, v[8:9]
	v_mov_b32_e32 v7, v4
	s_delay_alu instid0(VALU_DEP_4) | instskip(SKIP_1) | instid1(VALU_DEP_4)
	v_mov_b32_e32 v1, v5
	v_sub_nc_u32_e32 v4, v10, v0
	v_add_co_u32 v15, s0, s26, v8
	s_delay_alu instid0(VALU_DEP_4) | instskip(SKIP_1) | instid1(VALU_DEP_2)
	v_lshlrev_b64 v[6:7], 3, v[6:7]
	v_add_co_ci_u32_e64 v16, s0, s27, v9, s0
	v_add_co_u32 v17, s0, s26, v6
	s_delay_alu instid0(VALU_DEP_1)
	v_add_co_ci_u32_e64 v18, s0, s27, v7, s0
	v_dual_mov_b32 v7, v1 :: v_dual_mov_b32 v6, v0
	s_branch .LBB13_18
.LBB13_16:                              ;   in Loop: Header=BB13_18 Depth=1
	s_or_b32 exec_lo, exec_lo, s1
.LBB13_17:                              ;   in Loop: Header=BB13_18 Depth=1
	s_delay_alu instid0(SALU_CYCLE_1) | instskip(SKIP_1) | instid1(VALU_DEP_1)
	s_or_b32 exec_lo, exec_lo, s22
	v_add_co_u32 v6, s0, v6, 16
	v_add_co_ci_u32_e64 v7, s0, 0, v7, s0
	v_add_co_u32 v17, s1, v17, s8
	s_delay_alu instid0(VALU_DEP_3) | instskip(SKIP_3) | instid1(VALU_DEP_4)
	v_cmp_le_i32_e64 s0, s6, v6
	v_add_nc_u32_e32 v0, 16, v0
	v_add_co_ci_u32_e64 v18, s1, s9, v18, s1
	v_add_nc_u32_e32 v4, -16, v4
	s_or_b32 s21, s0, s21
	s_delay_alu instid0(SALU_CYCLE_1)
	s_and_not1_b32 exec_lo, exec_lo, s21
	s_cbranch_execz .LBB13_29
.LBB13_18:                              ; =>This Inner Loop Header: Depth=1
	s_and_saveexec_b32 s22, vcc_lo
	s_cbranch_execz .LBB13_17
; %bb.19:                               ;   in Loop: Header=BB13_18 Depth=1
	s_mov_b32 s23, 0
                                        ; implicit-def: $vgpr8_vgpr9
                                        ; implicit-def: $vgpr10_vgpr11
	s_mov_b32 s1, exec_lo
	v_cmpx_le_i32_e64 v6, v13
	s_xor_b32 s24, exec_lo, s1
	s_cbranch_execnz .LBB13_22
; %bb.20:                               ;   in Loop: Header=BB13_18 Depth=1
	s_and_not1_saveexec_b32 s24, s24
	s_cbranch_execnz .LBB13_25
.LBB13_21:                              ;   in Loop: Header=BB13_18 Depth=1
	s_or_b32 exec_lo, exec_lo, s24
	s_and_saveexec_b32 s1, s23
	s_cbranch_execz .LBB13_16
	s_branch .LBB13_28
.LBB13_22:                              ;   in Loop: Header=BB13_18 Depth=1
	v_cmp_ge_i32_e64 s0, s7, v4
	v_cmp_lt_i32_e64 s1, -1, v4
                                        ; implicit-def: $vgpr8_vgpr9
                                        ; implicit-def: $vgpr10_vgpr11
	s_delay_alu instid0(VALU_DEP_1)
	s_and_b32 s0, s0, s1
	s_mov_b32 s1, 0
	s_and_saveexec_b32 s23, s0
; %bb.23:                               ;   in Loop: Header=BB13_18 Depth=1
	v_lshlrev_b64 v[8:9], 3, v[4:5]
	v_mov_b32_e32 v1, v5
	s_mov_b32 s1, exec_lo
	s_delay_alu instid0(VALU_DEP_1) | instskip(NEXT) | instid1(VALU_DEP_3)
	v_dual_mov_b32 v11, v1 :: v_dual_mov_b32 v10, v0
	v_add_co_u32 v8, s0, v17, v8
	s_delay_alu instid0(VALU_DEP_1)
	v_add_co_ci_u32_e64 v9, s0, v18, v9, s0
; %bb.24:                               ;   in Loop: Header=BB13_18 Depth=1
	s_or_b32 exec_lo, exec_lo, s23
	s_delay_alu instid0(SALU_CYCLE_1)
	s_and_b32 s23, s1, exec_lo
	s_and_not1_saveexec_b32 s24, s24
	s_cbranch_execz .LBB13_21
.LBB13_25:                              ;   in Loop: Header=BB13_18 Depth=1
	v_add_nc_u32_e32 v10, v14, v6
                                        ; implicit-def: $vgpr8_vgpr9
	s_delay_alu instid0(VALU_DEP_1) | instskip(SKIP_1) | instid1(VALU_DEP_1)
	v_cmp_ge_i32_e64 s0, s7, v10
	v_cmp_lt_i32_e64 s1, -1, v10
	s_and_b32 s25, s0, s1
	s_mov_b32 s0, s23
	s_and_saveexec_b32 s1, s25
; %bb.26:                               ;   in Loop: Header=BB13_18 Depth=1
	v_mov_b32_e32 v11, v5
	s_delay_alu instid0(VALU_DEP_1) | instskip(NEXT) | instid1(VALU_DEP_1)
	v_lshlrev_b64 v[8:9], 3, v[10:11]
	v_add_co_u32 v8, s0, v15, v8
	s_delay_alu instid0(VALU_DEP_1)
	v_add_co_ci_u32_e64 v9, s0, v16, v9, s0
	s_or_b32 s0, s23, exec_lo
; %bb.27:                               ;   in Loop: Header=BB13_18 Depth=1
	s_or_b32 exec_lo, exec_lo, s1
	v_dual_mov_b32 v11, v7 :: v_dual_mov_b32 v10, v6
	s_and_not1_b32 s1, s23, exec_lo
	s_and_b32 s0, s0, exec_lo
	s_delay_alu instid0(SALU_CYCLE_1)
	s_or_b32 s23, s1, s0
	s_or_b32 exec_lo, exec_lo, s24
	s_and_saveexec_b32 s1, s23
	s_cbranch_execz .LBB13_16
.LBB13_28:                              ;   in Loop: Header=BB13_18 Depth=1
	v_mul_lo_u32 v1, v11, s18
	v_mul_lo_u32 v11, v10, s19
	v_mad_u64_u32 v[19:20], null, v10, s18, 0
	s_delay_alu instid0(VALU_DEP_1) | instskip(NEXT) | instid1(VALU_DEP_1)
	v_add3_u32 v20, v20, v11, v1
	v_lshlrev_b64 v[10:11], 3, v[19:20]
	s_delay_alu instid0(VALU_DEP_1) | instskip(NEXT) | instid1(VALU_DEP_1)
	v_add_co_u32 v10, s0, s4, v10
	v_add_co_ci_u32_e64 v11, s0, s5, v11, s0
	flat_load_b64 v[8:9], v[8:9]
	flat_load_b64 v[10:11], v[10:11]
	s_waitcnt vmcnt(0) lgkmcnt(0)
	v_fma_f64 v[2:3], v[8:9], v[10:11], v[2:3]
	s_branch .LBB13_16
.LBB13_29:
	s_or_b32 exec_lo, exec_lo, s21
.LBB13_30:
	s_delay_alu instid0(SALU_CYCLE_1) | instskip(SKIP_3) | instid1(VALU_DEP_3)
	s_or_b32 exec_lo, exec_lo, s20
	v_add_nc_u32_e32 v5, s14, v12
	v_cmp_gt_u32_e32 vcc_lo, 64, v12
	v_lshlrev_b32_e32 v4, 3, v12
                                        ; implicit-def: $vgpr0_vgpr1
	v_cmp_gt_i32_e64 s0, s6, v5
	ds_store_b64 v4, v[2:3]
	s_waitcnt lgkmcnt(0)
	s_barrier
	s_and_b32 s1, vcc_lo, s0
	buffer_gl0_inv
                                        ; implicit-def: $vgpr2_vgpr3
	s_and_saveexec_b32 s0, s1
	s_cbranch_execz .LBB13_34
; %bb.31:
	ds_load_2addr_stride64_b64 v[0:3], v4 offset1:1
	ds_load_2addr_stride64_b64 v[6:9], v4 offset0:2 offset1:3
	v_cmp_eq_f64_e64 s1, s[2:3], 0
	s_waitcnt lgkmcnt(1)
	v_add_f64 v[0:1], v[0:1], v[2:3]
	s_delay_alu instid0(VALU_DEP_2) | instskip(SKIP_1) | instid1(VALU_DEP_1)
	s_and_b32 vcc_lo, exec_lo, s1
	s_waitcnt lgkmcnt(0)
	v_add_f64 v[0:1], v[6:7], v[0:1]
	s_delay_alu instid0(VALU_DEP_1) | instskip(SKIP_4) | instid1(VALU_DEP_1)
	v_add_f64 v[10:11], v[8:9], v[0:1]
	ds_load_2addr_stride64_b64 v[0:3], v4 offset0:4 offset1:5
	ds_load_2addr_stride64_b64 v[6:9], v4 offset0:6 offset1:7
	s_waitcnt lgkmcnt(1)
	v_add_f64 v[0:1], v[0:1], v[10:11]
	v_add_f64 v[0:1], v[2:3], v[0:1]
	s_waitcnt lgkmcnt(0)
	s_delay_alu instid0(VALU_DEP_1) | instskip(NEXT) | instid1(VALU_DEP_1)
	v_add_f64 v[0:1], v[6:7], v[0:1]
	v_add_f64 v[10:11], v[8:9], v[0:1]
	ds_load_2addr_stride64_b64 v[0:3], v4 offset0:8 offset1:9
	ds_load_2addr_stride64_b64 v[6:9], v4 offset0:10 offset1:11
	s_waitcnt lgkmcnt(1)
	v_add_f64 v[0:1], v[0:1], v[10:11]
	s_delay_alu instid0(VALU_DEP_1) | instskip(SKIP_1) | instid1(VALU_DEP_1)
	v_add_f64 v[0:1], v[2:3], v[0:1]
	s_waitcnt lgkmcnt(0)
	v_add_f64 v[0:1], v[6:7], v[0:1]
	s_delay_alu instid0(VALU_DEP_1) | instskip(SKIP_4) | instid1(VALU_DEP_1)
	v_add_f64 v[10:11], v[8:9], v[0:1]
	ds_load_2addr_stride64_b64 v[0:3], v4 offset0:12 offset1:13
	ds_load_2addr_stride64_b64 v[6:9], v4 offset0:14 offset1:15
	s_waitcnt lgkmcnt(1)
	v_add_f64 v[0:1], v[0:1], v[10:11]
	v_add_f64 v[0:1], v[2:3], v[0:1]
	s_waitcnt lgkmcnt(0)
	s_delay_alu instid0(VALU_DEP_1) | instskip(NEXT) | instid1(VALU_DEP_1)
	v_add_f64 v[0:1], v[6:7], v[0:1]
	v_add_f64 v[6:7], v[8:9], v[0:1]
	v_ashrrev_i32_e32 v0, 31, v5
	v_mul_lo_u32 v8, v5, s17
	s_delay_alu instid0(VALU_DEP_2) | instskip(SKIP_1) | instid1(VALU_DEP_1)
	v_mul_lo_u32 v9, v0, s16
	v_mad_u64_u32 v[0:1], null, v5, s16, 0
	v_add3_u32 v1, v1, v8, v9
	v_mul_f64 v[2:3], s[12:13], v[6:7]
	ds_store_b64 v4, v[6:7]
	s_cbranch_vccnz .LBB13_33
; %bb.32:
	v_lshlrev_b64 v[4:5], 3, v[0:1]
	s_delay_alu instid0(VALU_DEP_1) | instskip(NEXT) | instid1(VALU_DEP_2)
	v_add_co_u32 v4, vcc_lo, s10, v4
	v_add_co_ci_u32_e32 v5, vcc_lo, s11, v5, vcc_lo
	global_load_b64 v[4:5], v[4:5], off
	s_waitcnt vmcnt(0)
	v_fma_f64 v[2:3], s[2:3], v[4:5], v[2:3]
.LBB13_33:
	s_or_b32 s15, s15, exec_lo
.LBB13_34:
	s_or_b32 exec_lo, exec_lo, s0
.LBB13_35:
	s_and_saveexec_b32 s0, s15
	s_cbranch_execz .LBB13_37
; %bb.36:
	v_lshlrev_b64 v[0:1], 3, v[0:1]
	s_delay_alu instid0(VALU_DEP_1) | instskip(NEXT) | instid1(VALU_DEP_2)
	v_add_co_u32 v0, vcc_lo, s10, v0
	v_add_co_ci_u32_e32 v1, vcc_lo, s11, v1, vcc_lo
	global_store_b64 v[0:1], v[2:3], off
.LBB13_37:
	s_nop 0
	s_sendmsg sendmsg(MSG_DEALLOC_VGPRS)
	s_endpgm
	.section	.rodata,"a",@progbits
	.p2align	6, 0x0
	.amdhsa_kernel _ZL19rocblas_sbmv_kernelILb0ELi64ELi16EPKdPKS1_PKPdEviiT2_lT3_lllS8_lllS7_lT4_llli
		.amdhsa_group_segment_fixed_size 8192
		.amdhsa_private_segment_fixed_size 0
		.amdhsa_kernarg_size 400
		.amdhsa_user_sgpr_count 14
		.amdhsa_user_sgpr_dispatch_ptr 0
		.amdhsa_user_sgpr_queue_ptr 0
		.amdhsa_user_sgpr_kernarg_segment_ptr 1
		.amdhsa_user_sgpr_dispatch_id 0
		.amdhsa_user_sgpr_private_segment_size 0
		.amdhsa_wavefront_size32 1
		.amdhsa_uses_dynamic_stack 0
		.amdhsa_enable_private_segment 0
		.amdhsa_system_sgpr_workgroup_id_x 1
		.amdhsa_system_sgpr_workgroup_id_y 0
		.amdhsa_system_sgpr_workgroup_id_z 1
		.amdhsa_system_sgpr_workgroup_info 0
		.amdhsa_system_vgpr_workitem_id 1
		.amdhsa_next_free_vgpr 21
		.amdhsa_next_free_sgpr 32
		.amdhsa_reserve_vcc 1
		.amdhsa_float_round_mode_32 0
		.amdhsa_float_round_mode_16_64 0
		.amdhsa_float_denorm_mode_32 3
		.amdhsa_float_denorm_mode_16_64 3
		.amdhsa_dx10_clamp 1
		.amdhsa_ieee_mode 1
		.amdhsa_fp16_overflow 0
		.amdhsa_workgroup_processor_mode 1
		.amdhsa_memory_ordered 1
		.amdhsa_forward_progress 0
		.amdhsa_shared_vgpr_count 0
		.amdhsa_exception_fp_ieee_invalid_op 0
		.amdhsa_exception_fp_denorm_src 0
		.amdhsa_exception_fp_ieee_div_zero 0
		.amdhsa_exception_fp_ieee_overflow 0
		.amdhsa_exception_fp_ieee_underflow 0
		.amdhsa_exception_fp_ieee_inexact 0
		.amdhsa_exception_int_div_zero 0
	.end_amdhsa_kernel
	.section	.text._ZL19rocblas_sbmv_kernelILb0ELi64ELi16EPKdPKS1_PKPdEviiT2_lT3_lllS8_lllS7_lT4_llli,"axG",@progbits,_ZL19rocblas_sbmv_kernelILb0ELi64ELi16EPKdPKS1_PKPdEviiT2_lT3_lllS8_lllS7_lT4_llli,comdat
.Lfunc_end13:
	.size	_ZL19rocblas_sbmv_kernelILb0ELi64ELi16EPKdPKS1_PKPdEviiT2_lT3_lllS8_lllS7_lT4_llli, .Lfunc_end13-_ZL19rocblas_sbmv_kernelILb0ELi64ELi16EPKdPKS1_PKPdEviiT2_lT3_lllS8_lllS7_lT4_llli
                                        ; -- End function
	.section	.AMDGPU.csdata,"",@progbits
; Kernel info:
; codeLenInByte = 1804
; NumSgprs: 34
; NumVgprs: 21
; ScratchSize: 0
; MemoryBound: 1
; FloatMode: 240
; IeeeMode: 1
; LDSByteSize: 8192 bytes/workgroup (compile time only)
; SGPRBlocks: 4
; VGPRBlocks: 2
; NumSGPRsForWavesPerEU: 34
; NumVGPRsForWavesPerEU: 21
; Occupancy: 16
; WaveLimiterHint : 1
; COMPUTE_PGM_RSRC2:SCRATCH_EN: 0
; COMPUTE_PGM_RSRC2:USER_SGPR: 14
; COMPUTE_PGM_RSRC2:TRAP_HANDLER: 0
; COMPUTE_PGM_RSRC2:TGID_X_EN: 1
; COMPUTE_PGM_RSRC2:TGID_Y_EN: 0
; COMPUTE_PGM_RSRC2:TGID_Z_EN: 1
; COMPUTE_PGM_RSRC2:TIDIG_COMP_CNT: 1
	.section	.text._ZL19rocblas_sbmv_kernelILb1ELi64ELi16EdPKPKdPKPdEviiT2_lT3_lllS8_lllS7_lT4_llli,"axG",@progbits,_ZL19rocblas_sbmv_kernelILb1ELi64ELi16EdPKPKdPKPdEviiT2_lT3_lllS8_lllS7_lT4_llli,comdat
	.globl	_ZL19rocblas_sbmv_kernelILb1ELi64ELi16EdPKPKdPKPdEviiT2_lT3_lllS8_lllS7_lT4_llli ; -- Begin function _ZL19rocblas_sbmv_kernelILb1ELi64ELi16EdPKPKdPKPdEviiT2_lT3_lllS8_lllS7_lT4_llli
	.p2align	8
	.type	_ZL19rocblas_sbmv_kernelILb1ELi64ELi16EdPKPKdPKPdEviiT2_lT3_lllS8_lllS7_lT4_llli,@function
_ZL19rocblas_sbmv_kernelILb1ELi64ELi16EdPKPKdPKPdEviiT2_lT3_lllS8_lllS7_lT4_llli: ; @_ZL19rocblas_sbmv_kernelILb1ELi64ELi16EdPKPKdPKPdEviiT2_lT3_lllS8_lllS7_lT4_llli
; %bb.0:
	s_load_b64 s[2:3], s[0:1], 0x9c
	s_mov_b32 s12, s15
	s_waitcnt lgkmcnt(0)
	s_lshr_b32 s4, s2, 16
	s_and_b32 s15, s2, 0xffff
	s_and_b32 s2, s3, 0xffff
	s_mul_i32 s3, s4, s15
	s_delay_alu instid0(SALU_CYCLE_1) | instskip(NEXT) | instid1(SALU_CYCLE_1)
	s_mul_i32 s3, s3, s2
	s_cmpk_lg_i32 s3, 0x400
	s_cbranch_scc1 .LBB14_39
; %bb.1:
	s_clause 0x1
	s_load_b64 s[8:9], s[0:1], 0x8
	s_load_b64 s[2:3], s[0:1], 0x58
	s_waitcnt lgkmcnt(0)
	v_cmp_eq_f64_e64 s22, s[8:9], 0
	v_cmp_eq_f64_e64 s4, s[2:3], 1.0
	s_delay_alu instid0(VALU_DEP_1) | instskip(NEXT) | instid1(SALU_CYCLE_1)
	s_and_b32 s4, s22, s4
	s_and_b32 vcc_lo, exec_lo, s4
	s_cbranch_vccnz .LBB14_39
; %bb.2:
	v_cmp_neq_f64_e64 s20, s[8:9], 0
	s_clause 0x1
	s_load_b128 s[4:7], s[0:1], 0x18
	s_load_b64 s[16:17], s[0:1], 0x28
	s_delay_alu instid0(VALU_DEP_1)
	s_and_b32 vcc_lo, exec_lo, s20
	s_cbranch_vccnz .LBB14_4
; %bb.3:
	s_mov_b32 s13, 0
	s_mov_b64 s[18:19], 0
	s_cbranch_execz .LBB14_5
	s_branch .LBB14_6
.LBB14_4:
	s_mov_b32 s13, -1
                                        ; implicit-def: $sgpr18_sgpr19
.LBB14_5:
	s_mov_b32 s13, 0
	s_delay_alu instid0(SALU_CYCLE_1)
	s_lshl_b64 s[10:11], s[12:13], 3
	s_waitcnt lgkmcnt(0)
	s_add_u32 s4, s4, s10
	s_addc_u32 s5, s5, s11
	s_lshl_b64 s[6:7], s[6:7], 3
	s_load_b64 s[4:5], s[4:5], 0x0
	s_waitcnt lgkmcnt(0)
	s_add_u32 s18, s4, s6
	s_addc_u32 s19, s5, s7
.LBB14_6:
	s_waitcnt lgkmcnt(0)
	s_clause 0x1
	s_load_b128 s[4:7], s[0:1], 0x38
	s_load_b64 s[10:11], s[0:1], 0x48
	s_and_not1_b32 vcc_lo, exec_lo, s20
	s_cbranch_vccnz .LBB14_8
; %bb.7:
	s_lshl_b64 s[20:21], s[12:13], 3
	s_waitcnt lgkmcnt(0)
	s_add_u32 s4, s4, s20
	s_addc_u32 s5, s5, s21
	s_lshl_b64 s[6:7], s[6:7], 3
	s_load_b64 s[4:5], s[4:5], 0x0
	s_waitcnt lgkmcnt(0)
	s_add_u32 s6, s4, s6
	s_addc_u32 s7, s5, s7
	s_branch .LBB14_9
.LBB14_8:
	s_waitcnt lgkmcnt(0)
	s_mov_b64 s[6:7], 0
.LBB14_9:
	s_load_b128 s[24:27], s[0:1], 0x68
	s_lshl_b64 s[4:5], s[12:13], 3
	v_and_b32_e32 v1, 0x3ff, v0
	v_bfe_u32 v0, v0, 10, 10
	s_delay_alu instid0(VALU_DEP_1)
	v_mad_u32_u24 v12, v0, s15, v1
	s_waitcnt lgkmcnt(0)
	s_add_u32 s4, s24, s4
	s_addc_u32 s5, s25, s5
	s_lshl_b64 s[24:25], s[26:27], 3
	s_load_b64 s[20:21], s[4:5], 0x0
	s_clause 0x1
	s_load_b64 s[12:13], s[0:1], 0x0
	s_load_b64 s[4:5], s[0:1], 0x78
	v_cmp_gt_u32_e64 s0, 64, v12
	s_waitcnt lgkmcnt(0)
	s_add_u32 s20, s20, s24
	s_addc_u32 s21, s21, s25
	s_and_not1_b32 vcc_lo, exec_lo, s22
	s_cbranch_vccnz .LBB14_14
; %bb.10:
	v_lshl_add_u32 v4, s14, 6, v12
	s_mov_b32 s1, 0
	s_mov_b32 s22, 0
                                        ; implicit-def: $vgpr2_vgpr3
                                        ; implicit-def: $vgpr0_vgpr1
	s_delay_alu instid0(VALU_DEP_1) | instskip(SKIP_1) | instid1(SALU_CYCLE_1)
	v_cmp_gt_i32_e32 vcc_lo, s12, v4
	s_and_b32 s15, s0, vcc_lo
	s_and_saveexec_b32 s0, s15
	s_cbranch_execz .LBB14_15
; %bb.11:
	v_cmp_eq_f64_e64 s15, s[2:3], 0
	v_ashrrev_i32_e32 v0, 31, v4
	v_mul_lo_u32 v2, v4, s5
	s_delay_alu instid0(VALU_DEP_2) | instskip(SKIP_1) | instid1(VALU_DEP_1)
	v_mul_lo_u32 v3, v0, s4
	v_mad_u64_u32 v[0:1], null, v4, s4, 0
	v_add3_u32 v1, v1, v2, v3
	v_mov_b32_e32 v2, 0
	v_mov_b32_e32 v3, 0
	s_and_b32 vcc_lo, exec_lo, s15
	s_cbranch_vccnz .LBB14_13
; %bb.12:
	s_delay_alu instid0(VALU_DEP_4) | instskip(NEXT) | instid1(VALU_DEP_1)
	v_lshlrev_b64 v[2:3], 3, v[0:1]
	v_add_co_u32 v2, vcc_lo, s20, v2
	s_delay_alu instid0(VALU_DEP_2)
	v_add_co_ci_u32_e32 v3, vcc_lo, s21, v3, vcc_lo
	global_load_b64 v[2:3], v[2:3], off
	s_waitcnt vmcnt(0)
	v_mul_f64 v[2:3], v[2:3], s[2:3]
.LBB14_13:
	s_mov_b32 s22, exec_lo
	s_or_b32 exec_lo, exec_lo, s0
	s_delay_alu instid0(SALU_CYCLE_1)
	s_and_b32 vcc_lo, exec_lo, s1
	s_cbranch_vccnz .LBB14_16
	s_branch .LBB14_37
.LBB14_14:
	s_mov_b32 s22, 0
                                        ; implicit-def: $vgpr2_vgpr3
                                        ; implicit-def: $vgpr0_vgpr1
	s_cbranch_execnz .LBB14_16
	s_branch .LBB14_37
.LBB14_15:
	s_or_b32 exec_lo, exec_lo, s0
	s_delay_alu instid0(SALU_CYCLE_1)
	s_and_b32 vcc_lo, exec_lo, s1
	s_cbranch_vccz .LBB14_37
.LBB14_16:
	v_mov_b32_e32 v2, 0
	v_lshrrev_b32_e32 v0, 6, v12
	v_mov_b32_e32 v3, 0
	s_lshl_b32 s23, s14, 6
	s_mov_b32 s24, exec_lo
	s_delay_alu instid0(VALU_DEP_2)
	v_cmpx_gt_i32_e64 s12, v0
	s_cbranch_execz .LBB14_32
; %bb.17:
	v_mad_u64_u32 v[6:7], null, s16, v0, 0
	v_and_b32_e32 v4, 63, v12
	s_ashr_i32 s0, s23, 31
	v_mov_b32_e32 v5, 0
	s_mul_i32 s0, s0, s16
	s_lshl_b64 s[14:15], s[16:17], 7
	s_delay_alu instid0(VALU_DEP_3) | instskip(SKIP_1) | instid1(VALU_DEP_2)
	v_mov_b32_e32 v1, v7
	v_or_b32_e32 v13, s23, v4
	v_mad_u64_u32 v[10:11], null, s17, v0, v[1:2]
	v_mov_b32_e32 v2, 0
	s_delay_alu instid0(VALU_DEP_3)
	v_mul_lo_u32 v7, v13, s17
	v_mad_u64_u32 v[8:9], null, v13, s16, 0
	v_mov_b32_e32 v1, v5
	v_sub_nc_u32_e32 v11, s13, v4
	v_add3_u32 v4, s13, s23, v4
	v_mov_b32_e32 v3, 0
	v_cmp_gt_i32_e32 vcc_lo, s12, v13
	v_add3_u32 v9, v9, v7, s0
	v_mov_b32_e32 v7, v10
	v_subrev_nc_u32_e32 v14, s23, v11
	v_sub_nc_u32_e32 v4, v4, v0
	s_delay_alu instid0(VALU_DEP_4) | instskip(NEXT) | instid1(VALU_DEP_4)
	v_lshlrev_b64 v[8:9], 3, v[8:9]
	v_lshlrev_b64 v[6:7], 3, v[6:7]
	s_delay_alu instid0(VALU_DEP_2) | instskip(NEXT) | instid1(VALU_DEP_1)
	v_add_co_u32 v15, s0, s18, v8
	v_add_co_ci_u32_e64 v16, s0, s19, v9, s0
	s_delay_alu instid0(VALU_DEP_3) | instskip(NEXT) | instid1(VALU_DEP_1)
	v_add_co_u32 v17, s0, s18, v6
	v_add_co_ci_u32_e64 v18, s0, s19, v7, s0
	v_dual_mov_b32 v7, v1 :: v_dual_mov_b32 v6, v0
	s_mov_b32 s18, 0
	s_branch .LBB14_20
.LBB14_18:                              ;   in Loop: Header=BB14_20 Depth=1
	s_or_b32 exec_lo, exec_lo, s1
.LBB14_19:                              ;   in Loop: Header=BB14_20 Depth=1
	s_delay_alu instid0(SALU_CYCLE_1) | instskip(SKIP_1) | instid1(VALU_DEP_1)
	s_or_b32 exec_lo, exec_lo, s16
	v_add_co_u32 v6, s0, v6, 16
	v_add_co_ci_u32_e64 v7, s0, 0, v7, s0
	v_add_co_u32 v17, s1, v17, s14
	s_delay_alu instid0(VALU_DEP_3) | instskip(SKIP_3) | instid1(VALU_DEP_4)
	v_cmp_le_i32_e64 s0, s12, v6
	v_add_nc_u32_e32 v0, 16, v0
	v_add_co_ci_u32_e64 v18, s1, s15, v18, s1
	v_add_nc_u32_e32 v4, -16, v4
	s_or_b32 s18, s0, s18
	s_delay_alu instid0(SALU_CYCLE_1)
	s_and_not1_b32 exec_lo, exec_lo, s18
	s_cbranch_execz .LBB14_31
.LBB14_20:                              ; =>This Inner Loop Header: Depth=1
	s_and_saveexec_b32 s16, vcc_lo
	s_cbranch_execz .LBB14_19
; %bb.21:                               ;   in Loop: Header=BB14_20 Depth=1
	s_mov_b32 s17, 0
                                        ; implicit-def: $vgpr8_vgpr9
                                        ; implicit-def: $vgpr10_vgpr11
	s_mov_b32 s1, exec_lo
	v_cmpx_ge_i32_e64 v6, v13
	s_xor_b32 s19, exec_lo, s1
	s_cbranch_execnz .LBB14_24
; %bb.22:                               ;   in Loop: Header=BB14_20 Depth=1
	s_and_not1_saveexec_b32 s19, s19
	s_cbranch_execnz .LBB14_27
.LBB14_23:                              ;   in Loop: Header=BB14_20 Depth=1
	s_or_b32 exec_lo, exec_lo, s19
	s_and_saveexec_b32 s1, s17
	s_cbranch_execz .LBB14_18
	s_branch .LBB14_30
.LBB14_24:                              ;   in Loop: Header=BB14_20 Depth=1
	v_cmp_ge_i32_e64 s0, s13, v4
	v_cmp_lt_i32_e64 s1, -1, v4
                                        ; implicit-def: $vgpr8_vgpr9
                                        ; implicit-def: $vgpr10_vgpr11
	s_delay_alu instid0(VALU_DEP_1) | instskip(SKIP_2) | instid1(SALU_CYCLE_1)
	s_and_b32 s0, s0, s1
	s_mov_b32 s1, 0
	s_and_saveexec_b32 s17, s0
	s_xor_b32 s17, exec_lo, s17
; %bb.25:                               ;   in Loop: Header=BB14_20 Depth=1
	v_lshlrev_b64 v[8:9], 3, v[4:5]
	v_mov_b32_e32 v1, v5
	s_mov_b32 s1, exec_lo
	s_delay_alu instid0(VALU_DEP_1) | instskip(NEXT) | instid1(VALU_DEP_3)
	v_dual_mov_b32 v11, v1 :: v_dual_mov_b32 v10, v0
	v_add_co_u32 v8, s0, v17, v8
	s_delay_alu instid0(VALU_DEP_1)
	v_add_co_ci_u32_e64 v9, s0, v18, v9, s0
; %bb.26:                               ;   in Loop: Header=BB14_20 Depth=1
	s_or_b32 exec_lo, exec_lo, s17
	s_delay_alu instid0(SALU_CYCLE_1)
	s_and_b32 s17, s1, exec_lo
	s_and_not1_saveexec_b32 s19, s19
	s_cbranch_execz .LBB14_23
.LBB14_27:                              ;   in Loop: Header=BB14_20 Depth=1
	v_add_nc_u32_e32 v10, v14, v6
                                        ; implicit-def: $vgpr8_vgpr9
	s_delay_alu instid0(VALU_DEP_1) | instskip(SKIP_1) | instid1(VALU_DEP_1)
	v_cmp_ge_i32_e64 s0, s13, v10
	v_cmp_lt_i32_e64 s1, -1, v10
	s_and_b32 s25, s0, s1
	s_mov_b32 s0, s17
	s_and_saveexec_b32 s1, s25
; %bb.28:                               ;   in Loop: Header=BB14_20 Depth=1
	v_mov_b32_e32 v11, v5
	s_delay_alu instid0(VALU_DEP_1) | instskip(NEXT) | instid1(VALU_DEP_1)
	v_lshlrev_b64 v[8:9], 3, v[10:11]
	v_add_co_u32 v8, s0, v15, v8
	s_delay_alu instid0(VALU_DEP_1)
	v_add_co_ci_u32_e64 v9, s0, v16, v9, s0
	s_or_b32 s0, s17, exec_lo
; %bb.29:                               ;   in Loop: Header=BB14_20 Depth=1
	s_or_b32 exec_lo, exec_lo, s1
	v_dual_mov_b32 v11, v7 :: v_dual_mov_b32 v10, v6
	s_and_not1_b32 s1, s17, exec_lo
	s_and_b32 s0, s0, exec_lo
	s_delay_alu instid0(SALU_CYCLE_1)
	s_or_b32 s17, s1, s0
	s_or_b32 exec_lo, exec_lo, s19
	s_and_saveexec_b32 s1, s17
	s_cbranch_execz .LBB14_18
.LBB14_30:                              ;   in Loop: Header=BB14_20 Depth=1
	v_mul_lo_u32 v1, v11, s10
	v_mul_lo_u32 v11, v10, s11
	v_mad_u64_u32 v[19:20], null, v10, s10, 0
	s_delay_alu instid0(VALU_DEP_1) | instskip(NEXT) | instid1(VALU_DEP_1)
	v_add3_u32 v20, v20, v11, v1
	v_lshlrev_b64 v[10:11], 3, v[19:20]
	s_delay_alu instid0(VALU_DEP_1) | instskip(NEXT) | instid1(VALU_DEP_1)
	v_add_co_u32 v10, s0, s6, v10
	v_add_co_ci_u32_e64 v11, s0, s7, v11, s0
	flat_load_b64 v[8:9], v[8:9]
	flat_load_b64 v[10:11], v[10:11]
	s_waitcnt vmcnt(0) lgkmcnt(0)
	v_fma_f64 v[2:3], v[8:9], v[10:11], v[2:3]
	s_branch .LBB14_18
.LBB14_31:
	s_or_b32 exec_lo, exec_lo, s18
.LBB14_32:
	s_delay_alu instid0(SALU_CYCLE_1) | instskip(SKIP_3) | instid1(VALU_DEP_3)
	s_or_b32 exec_lo, exec_lo, s24
	v_add_nc_u32_e32 v5, s23, v12
	v_cmp_gt_u32_e32 vcc_lo, 64, v12
	v_lshlrev_b32_e32 v4, 3, v12
                                        ; implicit-def: $vgpr0_vgpr1
	v_cmp_gt_i32_e64 s0, s12, v5
	ds_store_b64 v4, v[2:3]
	s_waitcnt lgkmcnt(0)
	s_barrier
	s_and_b32 s1, vcc_lo, s0
	buffer_gl0_inv
                                        ; implicit-def: $vgpr2_vgpr3
	s_and_saveexec_b32 s0, s1
	s_cbranch_execz .LBB14_36
; %bb.33:
	ds_load_2addr_stride64_b64 v[0:3], v4 offset1:1
	ds_load_2addr_stride64_b64 v[6:9], v4 offset0:2 offset1:3
	v_cmp_eq_f64_e64 s1, s[2:3], 0
	s_waitcnt lgkmcnt(1)
	v_add_f64 v[0:1], v[0:1], v[2:3]
	s_delay_alu instid0(VALU_DEP_2) | instskip(SKIP_1) | instid1(VALU_DEP_1)
	s_and_b32 vcc_lo, exec_lo, s1
	s_waitcnt lgkmcnt(0)
	v_add_f64 v[0:1], v[6:7], v[0:1]
	s_delay_alu instid0(VALU_DEP_1) | instskip(SKIP_4) | instid1(VALU_DEP_1)
	v_add_f64 v[10:11], v[8:9], v[0:1]
	ds_load_2addr_stride64_b64 v[0:3], v4 offset0:4 offset1:5
	ds_load_2addr_stride64_b64 v[6:9], v4 offset0:6 offset1:7
	s_waitcnt lgkmcnt(1)
	v_add_f64 v[0:1], v[0:1], v[10:11]
	v_add_f64 v[0:1], v[2:3], v[0:1]
	s_waitcnt lgkmcnt(0)
	s_delay_alu instid0(VALU_DEP_1) | instskip(NEXT) | instid1(VALU_DEP_1)
	v_add_f64 v[0:1], v[6:7], v[0:1]
	v_add_f64 v[10:11], v[8:9], v[0:1]
	ds_load_2addr_stride64_b64 v[0:3], v4 offset0:8 offset1:9
	ds_load_2addr_stride64_b64 v[6:9], v4 offset0:10 offset1:11
	s_waitcnt lgkmcnt(1)
	v_add_f64 v[0:1], v[0:1], v[10:11]
	s_delay_alu instid0(VALU_DEP_1) | instskip(SKIP_1) | instid1(VALU_DEP_1)
	v_add_f64 v[0:1], v[2:3], v[0:1]
	s_waitcnt lgkmcnt(0)
	v_add_f64 v[0:1], v[6:7], v[0:1]
	s_delay_alu instid0(VALU_DEP_1) | instskip(SKIP_4) | instid1(VALU_DEP_1)
	v_add_f64 v[10:11], v[8:9], v[0:1]
	ds_load_2addr_stride64_b64 v[0:3], v4 offset0:12 offset1:13
	ds_load_2addr_stride64_b64 v[6:9], v4 offset0:14 offset1:15
	s_waitcnt lgkmcnt(1)
	v_add_f64 v[0:1], v[0:1], v[10:11]
	v_add_f64 v[0:1], v[2:3], v[0:1]
	s_waitcnt lgkmcnt(0)
	s_delay_alu instid0(VALU_DEP_1) | instskip(NEXT) | instid1(VALU_DEP_1)
	v_add_f64 v[0:1], v[6:7], v[0:1]
	v_add_f64 v[6:7], v[8:9], v[0:1]
	v_ashrrev_i32_e32 v0, 31, v5
	v_mul_lo_u32 v8, v5, s5
	s_delay_alu instid0(VALU_DEP_2) | instskip(SKIP_1) | instid1(VALU_DEP_1)
	v_mul_lo_u32 v9, v0, s4
	v_mad_u64_u32 v[0:1], null, v5, s4, 0
	v_add3_u32 v1, v1, v8, v9
	v_mul_f64 v[2:3], v[6:7], s[8:9]
	ds_store_b64 v4, v[6:7]
	s_cbranch_vccnz .LBB14_35
; %bb.34:
	v_lshlrev_b64 v[4:5], 3, v[0:1]
	s_delay_alu instid0(VALU_DEP_1) | instskip(NEXT) | instid1(VALU_DEP_2)
	v_add_co_u32 v4, vcc_lo, s20, v4
	v_add_co_ci_u32_e32 v5, vcc_lo, s21, v5, vcc_lo
	global_load_b64 v[4:5], v[4:5], off
	s_waitcnt vmcnt(0)
	v_fma_f64 v[2:3], v[4:5], s[2:3], v[2:3]
.LBB14_35:
	s_or_b32 s22, s22, exec_lo
.LBB14_36:
	s_or_b32 exec_lo, exec_lo, s0
.LBB14_37:
	s_and_saveexec_b32 s0, s22
	s_cbranch_execz .LBB14_39
; %bb.38:
	v_lshlrev_b64 v[0:1], 3, v[0:1]
	s_delay_alu instid0(VALU_DEP_1) | instskip(NEXT) | instid1(VALU_DEP_2)
	v_add_co_u32 v0, vcc_lo, s20, v0
	v_add_co_ci_u32_e32 v1, vcc_lo, s21, v1, vcc_lo
	global_store_b64 v[0:1], v[2:3], off
.LBB14_39:
	s_nop 0
	s_sendmsg sendmsg(MSG_DEALLOC_VGPRS)
	s_endpgm
	.section	.rodata,"a",@progbits
	.p2align	6, 0x0
	.amdhsa_kernel _ZL19rocblas_sbmv_kernelILb1ELi64ELi16EdPKPKdPKPdEviiT2_lT3_lllS8_lllS7_lT4_llli
		.amdhsa_group_segment_fixed_size 8192
		.amdhsa_private_segment_fixed_size 0
		.amdhsa_kernarg_size 400
		.amdhsa_user_sgpr_count 14
		.amdhsa_user_sgpr_dispatch_ptr 0
		.amdhsa_user_sgpr_queue_ptr 0
		.amdhsa_user_sgpr_kernarg_segment_ptr 1
		.amdhsa_user_sgpr_dispatch_id 0
		.amdhsa_user_sgpr_private_segment_size 0
		.amdhsa_wavefront_size32 1
		.amdhsa_uses_dynamic_stack 0
		.amdhsa_enable_private_segment 0
		.amdhsa_system_sgpr_workgroup_id_x 1
		.amdhsa_system_sgpr_workgroup_id_y 0
		.amdhsa_system_sgpr_workgroup_id_z 1
		.amdhsa_system_sgpr_workgroup_info 0
		.amdhsa_system_vgpr_workitem_id 1
		.amdhsa_next_free_vgpr 21
		.amdhsa_next_free_sgpr 28
		.amdhsa_reserve_vcc 1
		.amdhsa_float_round_mode_32 0
		.amdhsa_float_round_mode_16_64 0
		.amdhsa_float_denorm_mode_32 3
		.amdhsa_float_denorm_mode_16_64 3
		.amdhsa_dx10_clamp 1
		.amdhsa_ieee_mode 1
		.amdhsa_fp16_overflow 0
		.amdhsa_workgroup_processor_mode 1
		.amdhsa_memory_ordered 1
		.amdhsa_forward_progress 0
		.amdhsa_shared_vgpr_count 0
		.amdhsa_exception_fp_ieee_invalid_op 0
		.amdhsa_exception_fp_denorm_src 0
		.amdhsa_exception_fp_ieee_div_zero 0
		.amdhsa_exception_fp_ieee_overflow 0
		.amdhsa_exception_fp_ieee_underflow 0
		.amdhsa_exception_fp_ieee_inexact 0
		.amdhsa_exception_int_div_zero 0
	.end_amdhsa_kernel
	.section	.text._ZL19rocblas_sbmv_kernelILb1ELi64ELi16EdPKPKdPKPdEviiT2_lT3_lllS8_lllS7_lT4_llli,"axG",@progbits,_ZL19rocblas_sbmv_kernelILb1ELi64ELi16EdPKPKdPKPdEviiT2_lT3_lllS8_lllS7_lT4_llli,comdat
.Lfunc_end14:
	.size	_ZL19rocblas_sbmv_kernelILb1ELi64ELi16EdPKPKdPKPdEviiT2_lT3_lllS8_lllS7_lT4_llli, .Lfunc_end14-_ZL19rocblas_sbmv_kernelILb1ELi64ELi16EdPKPKdPKPdEviiT2_lT3_lllS8_lllS7_lT4_llli
                                        ; -- End function
	.section	.AMDGPU.csdata,"",@progbits
; Kernel info:
; codeLenInByte = 1780
; NumSgprs: 30
; NumVgprs: 21
; ScratchSize: 0
; MemoryBound: 1
; FloatMode: 240
; IeeeMode: 1
; LDSByteSize: 8192 bytes/workgroup (compile time only)
; SGPRBlocks: 3
; VGPRBlocks: 2
; NumSGPRsForWavesPerEU: 30
; NumVGPRsForWavesPerEU: 21
; Occupancy: 16
; WaveLimiterHint : 1
; COMPUTE_PGM_RSRC2:SCRATCH_EN: 0
; COMPUTE_PGM_RSRC2:USER_SGPR: 14
; COMPUTE_PGM_RSRC2:TRAP_HANDLER: 0
; COMPUTE_PGM_RSRC2:TGID_X_EN: 1
; COMPUTE_PGM_RSRC2:TGID_Y_EN: 0
; COMPUTE_PGM_RSRC2:TGID_Z_EN: 1
; COMPUTE_PGM_RSRC2:TIDIG_COMP_CNT: 1
	.section	.text._ZL19rocblas_sbmv_kernelILb0ELi64ELi16EdPKPKdPKPdEviiT2_lT3_lllS8_lllS7_lT4_llli,"axG",@progbits,_ZL19rocblas_sbmv_kernelILb0ELi64ELi16EdPKPKdPKPdEviiT2_lT3_lllS8_lllS7_lT4_llli,comdat
	.globl	_ZL19rocblas_sbmv_kernelILb0ELi64ELi16EdPKPKdPKPdEviiT2_lT3_lllS8_lllS7_lT4_llli ; -- Begin function _ZL19rocblas_sbmv_kernelILb0ELi64ELi16EdPKPKdPKPdEviiT2_lT3_lllS8_lllS7_lT4_llli
	.p2align	8
	.type	_ZL19rocblas_sbmv_kernelILb0ELi64ELi16EdPKPKdPKPdEviiT2_lT3_lllS8_lllS7_lT4_llli,@function
_ZL19rocblas_sbmv_kernelILb0ELi64ELi16EdPKPKdPKPdEviiT2_lT3_lllS8_lllS7_lT4_llli: ; @_ZL19rocblas_sbmv_kernelILb0ELi64ELi16EdPKPKdPKPdEviiT2_lT3_lllS8_lllS7_lT4_llli
; %bb.0:
	s_load_b64 s[2:3], s[0:1], 0x9c
	s_mov_b32 s12, s15
	s_waitcnt lgkmcnt(0)
	s_lshr_b32 s4, s2, 16
	s_and_b32 s15, s2, 0xffff
	s_and_b32 s2, s3, 0xffff
	s_mul_i32 s3, s4, s15
	s_delay_alu instid0(SALU_CYCLE_1) | instskip(NEXT) | instid1(SALU_CYCLE_1)
	s_mul_i32 s3, s3, s2
	s_cmpk_lg_i32 s3, 0x400
	s_cbranch_scc1 .LBB15_39
; %bb.1:
	s_clause 0x1
	s_load_b64 s[8:9], s[0:1], 0x8
	s_load_b64 s[2:3], s[0:1], 0x58
	s_waitcnt lgkmcnt(0)
	v_cmp_eq_f64_e64 s22, s[8:9], 0
	v_cmp_eq_f64_e64 s4, s[2:3], 1.0
	s_delay_alu instid0(VALU_DEP_1) | instskip(NEXT) | instid1(SALU_CYCLE_1)
	s_and_b32 s4, s22, s4
	s_and_b32 vcc_lo, exec_lo, s4
	s_cbranch_vccnz .LBB15_39
; %bb.2:
	v_cmp_neq_f64_e64 s20, s[8:9], 0
	s_clause 0x1
	s_load_b128 s[4:7], s[0:1], 0x18
	s_load_b64 s[16:17], s[0:1], 0x28
	s_delay_alu instid0(VALU_DEP_1)
	s_and_b32 vcc_lo, exec_lo, s20
	s_cbranch_vccnz .LBB15_4
; %bb.3:
	s_mov_b32 s13, 0
	s_mov_b64 s[18:19], 0
	s_cbranch_execz .LBB15_5
	s_branch .LBB15_6
.LBB15_4:
	s_mov_b32 s13, -1
                                        ; implicit-def: $sgpr18_sgpr19
.LBB15_5:
	s_mov_b32 s13, 0
	s_delay_alu instid0(SALU_CYCLE_1)
	s_lshl_b64 s[10:11], s[12:13], 3
	s_waitcnt lgkmcnt(0)
	s_add_u32 s4, s4, s10
	s_addc_u32 s5, s5, s11
	s_lshl_b64 s[6:7], s[6:7], 3
	s_load_b64 s[4:5], s[4:5], 0x0
	s_waitcnt lgkmcnt(0)
	s_add_u32 s18, s4, s6
	s_addc_u32 s19, s5, s7
.LBB15_6:
	s_waitcnt lgkmcnt(0)
	s_clause 0x1
	s_load_b128 s[4:7], s[0:1], 0x38
	s_load_b64 s[10:11], s[0:1], 0x48
	s_and_not1_b32 vcc_lo, exec_lo, s20
	s_cbranch_vccnz .LBB15_8
; %bb.7:
	s_lshl_b64 s[20:21], s[12:13], 3
	s_waitcnt lgkmcnt(0)
	s_add_u32 s4, s4, s20
	s_addc_u32 s5, s5, s21
	s_lshl_b64 s[6:7], s[6:7], 3
	s_load_b64 s[4:5], s[4:5], 0x0
	s_waitcnt lgkmcnt(0)
	s_add_u32 s6, s4, s6
	s_addc_u32 s7, s5, s7
	s_branch .LBB15_9
.LBB15_8:
	s_waitcnt lgkmcnt(0)
	s_mov_b64 s[6:7], 0
.LBB15_9:
	s_load_b128 s[24:27], s[0:1], 0x68
	s_lshl_b64 s[4:5], s[12:13], 3
	v_and_b32_e32 v1, 0x3ff, v0
	v_bfe_u32 v0, v0, 10, 10
	s_delay_alu instid0(VALU_DEP_1)
	v_mad_u32_u24 v12, v0, s15, v1
	s_waitcnt lgkmcnt(0)
	s_add_u32 s4, s24, s4
	s_addc_u32 s5, s25, s5
	s_lshl_b64 s[24:25], s[26:27], 3
	s_load_b64 s[20:21], s[4:5], 0x0
	s_clause 0x1
	s_load_b64 s[12:13], s[0:1], 0x0
	s_load_b64 s[4:5], s[0:1], 0x78
	v_cmp_gt_u32_e64 s0, 64, v12
	s_waitcnt lgkmcnt(0)
	s_add_u32 s20, s20, s24
	s_addc_u32 s21, s21, s25
	s_and_not1_b32 vcc_lo, exec_lo, s22
	s_cbranch_vccnz .LBB15_14
; %bb.10:
	v_lshl_add_u32 v4, s14, 6, v12
	s_mov_b32 s1, 0
	s_mov_b32 s22, 0
                                        ; implicit-def: $vgpr2_vgpr3
                                        ; implicit-def: $vgpr0_vgpr1
	s_delay_alu instid0(VALU_DEP_1) | instskip(SKIP_1) | instid1(SALU_CYCLE_1)
	v_cmp_gt_i32_e32 vcc_lo, s12, v4
	s_and_b32 s15, s0, vcc_lo
	s_and_saveexec_b32 s0, s15
	s_cbranch_execz .LBB15_15
; %bb.11:
	v_cmp_eq_f64_e64 s15, s[2:3], 0
	v_ashrrev_i32_e32 v0, 31, v4
	v_mul_lo_u32 v2, v4, s5
	s_delay_alu instid0(VALU_DEP_2) | instskip(SKIP_1) | instid1(VALU_DEP_1)
	v_mul_lo_u32 v3, v0, s4
	v_mad_u64_u32 v[0:1], null, v4, s4, 0
	v_add3_u32 v1, v1, v2, v3
	v_mov_b32_e32 v2, 0
	v_mov_b32_e32 v3, 0
	s_and_b32 vcc_lo, exec_lo, s15
	s_cbranch_vccnz .LBB15_13
; %bb.12:
	s_delay_alu instid0(VALU_DEP_4) | instskip(NEXT) | instid1(VALU_DEP_1)
	v_lshlrev_b64 v[2:3], 3, v[0:1]
	v_add_co_u32 v2, vcc_lo, s20, v2
	s_delay_alu instid0(VALU_DEP_2)
	v_add_co_ci_u32_e32 v3, vcc_lo, s21, v3, vcc_lo
	global_load_b64 v[2:3], v[2:3], off
	s_waitcnt vmcnt(0)
	v_mul_f64 v[2:3], v[2:3], s[2:3]
.LBB15_13:
	s_mov_b32 s22, exec_lo
	s_or_b32 exec_lo, exec_lo, s0
	s_delay_alu instid0(SALU_CYCLE_1)
	s_and_b32 vcc_lo, exec_lo, s1
	s_cbranch_vccnz .LBB15_16
	s_branch .LBB15_37
.LBB15_14:
	s_mov_b32 s22, 0
                                        ; implicit-def: $vgpr2_vgpr3
                                        ; implicit-def: $vgpr0_vgpr1
	s_cbranch_execnz .LBB15_16
	s_branch .LBB15_37
.LBB15_15:
	s_or_b32 exec_lo, exec_lo, s0
	s_delay_alu instid0(SALU_CYCLE_1)
	s_and_b32 vcc_lo, exec_lo, s1
	s_cbranch_vccz .LBB15_37
.LBB15_16:
	v_mov_b32_e32 v2, 0
	v_lshrrev_b32_e32 v0, 6, v12
	v_mov_b32_e32 v3, 0
	s_lshl_b32 s23, s14, 6
	s_mov_b32 s24, exec_lo
	s_delay_alu instid0(VALU_DEP_2)
	v_cmpx_gt_i32_e64 s12, v0
	s_cbranch_execz .LBB15_32
; %bb.17:
	v_mad_u64_u32 v[6:7], null, s16, v0, 0
	v_and_b32_e32 v10, 63, v12
	s_ashr_i32 s0, s23, 31
	s_lshl_b64 s[14:15], s[16:17], 7
	s_mul_i32 s0, s0, s16
	s_delay_alu instid0(VALU_DEP_2) | instskip(SKIP_2) | instid1(VALU_DEP_2)
	v_mov_b32_e32 v1, v7
	v_or_b32_e32 v13, s23, v10
	v_add_nc_u32_e32 v10, s23, v10
	v_mul_lo_u32 v2, v13, s17
	v_mad_u64_u32 v[8:9], null, v13, s16, 0
	v_cmp_gt_i32_e32 vcc_lo, s12, v13
	s_delay_alu instid0(VALU_DEP_4) | instskip(NEXT) | instid1(VALU_DEP_4)
	v_sub_nc_u32_e32 v14, 0, v10
	v_mad_u64_u32 v[4:5], null, s17, v0, v[1:2]
	s_delay_alu instid0(VALU_DEP_4) | instskip(SKIP_2) | instid1(VALU_DEP_3)
	v_add3_u32 v9, v9, v2, s0
	v_dual_mov_b32 v5, 0 :: v_dual_mov_b32 v2, 0
	v_mov_b32_e32 v3, 0
	v_lshlrev_b64 v[8:9], 3, v[8:9]
	v_mov_b32_e32 v7, v4
	s_delay_alu instid0(VALU_DEP_4) | instskip(SKIP_1) | instid1(VALU_DEP_4)
	v_mov_b32_e32 v1, v5
	v_sub_nc_u32_e32 v4, v10, v0
	v_add_co_u32 v15, s0, s18, v8
	s_delay_alu instid0(VALU_DEP_4) | instskip(SKIP_1) | instid1(VALU_DEP_2)
	v_lshlrev_b64 v[6:7], 3, v[6:7]
	v_add_co_ci_u32_e64 v16, s0, s19, v9, s0
	v_add_co_u32 v17, s0, s18, v6
	s_delay_alu instid0(VALU_DEP_1)
	v_add_co_ci_u32_e64 v18, s0, s19, v7, s0
	v_dual_mov_b32 v7, v1 :: v_dual_mov_b32 v6, v0
	s_mov_b32 s18, 0
	s_branch .LBB15_20
.LBB15_18:                              ;   in Loop: Header=BB15_20 Depth=1
	s_or_b32 exec_lo, exec_lo, s1
.LBB15_19:                              ;   in Loop: Header=BB15_20 Depth=1
	s_delay_alu instid0(SALU_CYCLE_1) | instskip(SKIP_1) | instid1(VALU_DEP_1)
	s_or_b32 exec_lo, exec_lo, s16
	v_add_co_u32 v6, s0, v6, 16
	v_add_co_ci_u32_e64 v7, s0, 0, v7, s0
	v_add_co_u32 v17, s1, v17, s14
	s_delay_alu instid0(VALU_DEP_3) | instskip(SKIP_3) | instid1(VALU_DEP_4)
	v_cmp_le_i32_e64 s0, s12, v6
	v_add_nc_u32_e32 v0, 16, v0
	v_add_co_ci_u32_e64 v18, s1, s15, v18, s1
	v_add_nc_u32_e32 v4, -16, v4
	s_or_b32 s18, s0, s18
	s_delay_alu instid0(SALU_CYCLE_1)
	s_and_not1_b32 exec_lo, exec_lo, s18
	s_cbranch_execz .LBB15_31
.LBB15_20:                              ; =>This Inner Loop Header: Depth=1
	s_and_saveexec_b32 s16, vcc_lo
	s_cbranch_execz .LBB15_19
; %bb.21:                               ;   in Loop: Header=BB15_20 Depth=1
	s_mov_b32 s17, 0
                                        ; implicit-def: $vgpr8_vgpr9
                                        ; implicit-def: $vgpr10_vgpr11
	s_mov_b32 s1, exec_lo
	v_cmpx_le_i32_e64 v6, v13
	s_xor_b32 s19, exec_lo, s1
	s_cbranch_execnz .LBB15_24
; %bb.22:                               ;   in Loop: Header=BB15_20 Depth=1
	s_and_not1_saveexec_b32 s19, s19
	s_cbranch_execnz .LBB15_27
.LBB15_23:                              ;   in Loop: Header=BB15_20 Depth=1
	s_or_b32 exec_lo, exec_lo, s19
	s_and_saveexec_b32 s1, s17
	s_cbranch_execz .LBB15_18
	s_branch .LBB15_30
.LBB15_24:                              ;   in Loop: Header=BB15_20 Depth=1
	v_cmp_ge_i32_e64 s0, s13, v4
	v_cmp_lt_i32_e64 s1, -1, v4
                                        ; implicit-def: $vgpr8_vgpr9
                                        ; implicit-def: $vgpr10_vgpr11
	s_delay_alu instid0(VALU_DEP_1)
	s_and_b32 s0, s0, s1
	s_mov_b32 s1, 0
	s_and_saveexec_b32 s17, s0
; %bb.25:                               ;   in Loop: Header=BB15_20 Depth=1
	v_lshlrev_b64 v[8:9], 3, v[4:5]
	v_mov_b32_e32 v1, v5
	s_mov_b32 s1, exec_lo
	s_delay_alu instid0(VALU_DEP_1) | instskip(NEXT) | instid1(VALU_DEP_3)
	v_dual_mov_b32 v11, v1 :: v_dual_mov_b32 v10, v0
	v_add_co_u32 v8, s0, v17, v8
	s_delay_alu instid0(VALU_DEP_1)
	v_add_co_ci_u32_e64 v9, s0, v18, v9, s0
; %bb.26:                               ;   in Loop: Header=BB15_20 Depth=1
	s_or_b32 exec_lo, exec_lo, s17
	s_delay_alu instid0(SALU_CYCLE_1)
	s_and_b32 s17, s1, exec_lo
	s_and_not1_saveexec_b32 s19, s19
	s_cbranch_execz .LBB15_23
.LBB15_27:                              ;   in Loop: Header=BB15_20 Depth=1
	v_add_nc_u32_e32 v10, v14, v6
                                        ; implicit-def: $vgpr8_vgpr9
	s_delay_alu instid0(VALU_DEP_1) | instskip(SKIP_1) | instid1(VALU_DEP_1)
	v_cmp_ge_i32_e64 s0, s13, v10
	v_cmp_lt_i32_e64 s1, -1, v10
	s_and_b32 s25, s0, s1
	s_mov_b32 s0, s17
	s_and_saveexec_b32 s1, s25
; %bb.28:                               ;   in Loop: Header=BB15_20 Depth=1
	v_mov_b32_e32 v11, v5
	s_delay_alu instid0(VALU_DEP_1) | instskip(NEXT) | instid1(VALU_DEP_1)
	v_lshlrev_b64 v[8:9], 3, v[10:11]
	v_add_co_u32 v8, s0, v15, v8
	s_delay_alu instid0(VALU_DEP_1)
	v_add_co_ci_u32_e64 v9, s0, v16, v9, s0
	s_or_b32 s0, s17, exec_lo
; %bb.29:                               ;   in Loop: Header=BB15_20 Depth=1
	s_or_b32 exec_lo, exec_lo, s1
	v_dual_mov_b32 v11, v7 :: v_dual_mov_b32 v10, v6
	s_and_not1_b32 s1, s17, exec_lo
	s_and_b32 s0, s0, exec_lo
	s_delay_alu instid0(SALU_CYCLE_1)
	s_or_b32 s17, s1, s0
	s_or_b32 exec_lo, exec_lo, s19
	s_and_saveexec_b32 s1, s17
	s_cbranch_execz .LBB15_18
.LBB15_30:                              ;   in Loop: Header=BB15_20 Depth=1
	v_mul_lo_u32 v1, v11, s10
	v_mul_lo_u32 v11, v10, s11
	v_mad_u64_u32 v[19:20], null, v10, s10, 0
	s_delay_alu instid0(VALU_DEP_1) | instskip(NEXT) | instid1(VALU_DEP_1)
	v_add3_u32 v20, v20, v11, v1
	v_lshlrev_b64 v[10:11], 3, v[19:20]
	s_delay_alu instid0(VALU_DEP_1) | instskip(NEXT) | instid1(VALU_DEP_1)
	v_add_co_u32 v10, s0, s6, v10
	v_add_co_ci_u32_e64 v11, s0, s7, v11, s0
	flat_load_b64 v[8:9], v[8:9]
	flat_load_b64 v[10:11], v[10:11]
	s_waitcnt vmcnt(0) lgkmcnt(0)
	v_fma_f64 v[2:3], v[8:9], v[10:11], v[2:3]
	s_branch .LBB15_18
.LBB15_31:
	s_or_b32 exec_lo, exec_lo, s18
.LBB15_32:
	s_delay_alu instid0(SALU_CYCLE_1) | instskip(SKIP_3) | instid1(VALU_DEP_3)
	s_or_b32 exec_lo, exec_lo, s24
	v_add_nc_u32_e32 v5, s23, v12
	v_cmp_gt_u32_e32 vcc_lo, 64, v12
	v_lshlrev_b32_e32 v4, 3, v12
                                        ; implicit-def: $vgpr0_vgpr1
	v_cmp_gt_i32_e64 s0, s12, v5
	ds_store_b64 v4, v[2:3]
	s_waitcnt lgkmcnt(0)
	s_barrier
	s_and_b32 s1, vcc_lo, s0
	buffer_gl0_inv
                                        ; implicit-def: $vgpr2_vgpr3
	s_and_saveexec_b32 s0, s1
	s_cbranch_execz .LBB15_36
; %bb.33:
	ds_load_2addr_stride64_b64 v[0:3], v4 offset1:1
	ds_load_2addr_stride64_b64 v[6:9], v4 offset0:2 offset1:3
	v_cmp_eq_f64_e64 s1, s[2:3], 0
	s_waitcnt lgkmcnt(1)
	v_add_f64 v[0:1], v[0:1], v[2:3]
	s_delay_alu instid0(VALU_DEP_2) | instskip(SKIP_1) | instid1(VALU_DEP_1)
	s_and_b32 vcc_lo, exec_lo, s1
	s_waitcnt lgkmcnt(0)
	v_add_f64 v[0:1], v[6:7], v[0:1]
	s_delay_alu instid0(VALU_DEP_1) | instskip(SKIP_4) | instid1(VALU_DEP_1)
	v_add_f64 v[10:11], v[8:9], v[0:1]
	ds_load_2addr_stride64_b64 v[0:3], v4 offset0:4 offset1:5
	ds_load_2addr_stride64_b64 v[6:9], v4 offset0:6 offset1:7
	s_waitcnt lgkmcnt(1)
	v_add_f64 v[0:1], v[0:1], v[10:11]
	v_add_f64 v[0:1], v[2:3], v[0:1]
	s_waitcnt lgkmcnt(0)
	s_delay_alu instid0(VALU_DEP_1) | instskip(NEXT) | instid1(VALU_DEP_1)
	v_add_f64 v[0:1], v[6:7], v[0:1]
	v_add_f64 v[10:11], v[8:9], v[0:1]
	ds_load_2addr_stride64_b64 v[0:3], v4 offset0:8 offset1:9
	ds_load_2addr_stride64_b64 v[6:9], v4 offset0:10 offset1:11
	s_waitcnt lgkmcnt(1)
	v_add_f64 v[0:1], v[0:1], v[10:11]
	s_delay_alu instid0(VALU_DEP_1) | instskip(SKIP_1) | instid1(VALU_DEP_1)
	v_add_f64 v[0:1], v[2:3], v[0:1]
	s_waitcnt lgkmcnt(0)
	v_add_f64 v[0:1], v[6:7], v[0:1]
	s_delay_alu instid0(VALU_DEP_1) | instskip(SKIP_4) | instid1(VALU_DEP_1)
	v_add_f64 v[10:11], v[8:9], v[0:1]
	ds_load_2addr_stride64_b64 v[0:3], v4 offset0:12 offset1:13
	ds_load_2addr_stride64_b64 v[6:9], v4 offset0:14 offset1:15
	s_waitcnt lgkmcnt(1)
	v_add_f64 v[0:1], v[0:1], v[10:11]
	v_add_f64 v[0:1], v[2:3], v[0:1]
	s_waitcnt lgkmcnt(0)
	s_delay_alu instid0(VALU_DEP_1) | instskip(NEXT) | instid1(VALU_DEP_1)
	v_add_f64 v[0:1], v[6:7], v[0:1]
	v_add_f64 v[6:7], v[8:9], v[0:1]
	v_ashrrev_i32_e32 v0, 31, v5
	v_mul_lo_u32 v8, v5, s5
	s_delay_alu instid0(VALU_DEP_2) | instskip(SKIP_1) | instid1(VALU_DEP_1)
	v_mul_lo_u32 v9, v0, s4
	v_mad_u64_u32 v[0:1], null, v5, s4, 0
	v_add3_u32 v1, v1, v8, v9
	v_mul_f64 v[2:3], v[6:7], s[8:9]
	ds_store_b64 v4, v[6:7]
	s_cbranch_vccnz .LBB15_35
; %bb.34:
	v_lshlrev_b64 v[4:5], 3, v[0:1]
	s_delay_alu instid0(VALU_DEP_1) | instskip(NEXT) | instid1(VALU_DEP_2)
	v_add_co_u32 v4, vcc_lo, s20, v4
	v_add_co_ci_u32_e32 v5, vcc_lo, s21, v5, vcc_lo
	global_load_b64 v[4:5], v[4:5], off
	s_waitcnt vmcnt(0)
	v_fma_f64 v[2:3], v[4:5], s[2:3], v[2:3]
.LBB15_35:
	s_or_b32 s22, s22, exec_lo
.LBB15_36:
	s_or_b32 exec_lo, exec_lo, s0
.LBB15_37:
	s_and_saveexec_b32 s0, s22
	s_cbranch_execz .LBB15_39
; %bb.38:
	v_lshlrev_b64 v[0:1], 3, v[0:1]
	s_delay_alu instid0(VALU_DEP_1) | instskip(NEXT) | instid1(VALU_DEP_2)
	v_add_co_u32 v0, vcc_lo, s20, v0
	v_add_co_ci_u32_e32 v1, vcc_lo, s21, v1, vcc_lo
	global_store_b64 v[0:1], v[2:3], off
.LBB15_39:
	s_nop 0
	s_sendmsg sendmsg(MSG_DEALLOC_VGPRS)
	s_endpgm
	.section	.rodata,"a",@progbits
	.p2align	6, 0x0
	.amdhsa_kernel _ZL19rocblas_sbmv_kernelILb0ELi64ELi16EdPKPKdPKPdEviiT2_lT3_lllS8_lllS7_lT4_llli
		.amdhsa_group_segment_fixed_size 8192
		.amdhsa_private_segment_fixed_size 0
		.amdhsa_kernarg_size 400
		.amdhsa_user_sgpr_count 14
		.amdhsa_user_sgpr_dispatch_ptr 0
		.amdhsa_user_sgpr_queue_ptr 0
		.amdhsa_user_sgpr_kernarg_segment_ptr 1
		.amdhsa_user_sgpr_dispatch_id 0
		.amdhsa_user_sgpr_private_segment_size 0
		.amdhsa_wavefront_size32 1
		.amdhsa_uses_dynamic_stack 0
		.amdhsa_enable_private_segment 0
		.amdhsa_system_sgpr_workgroup_id_x 1
		.amdhsa_system_sgpr_workgroup_id_y 0
		.amdhsa_system_sgpr_workgroup_id_z 1
		.amdhsa_system_sgpr_workgroup_info 0
		.amdhsa_system_vgpr_workitem_id 1
		.amdhsa_next_free_vgpr 21
		.amdhsa_next_free_sgpr 28
		.amdhsa_reserve_vcc 1
		.amdhsa_float_round_mode_32 0
		.amdhsa_float_round_mode_16_64 0
		.amdhsa_float_denorm_mode_32 3
		.amdhsa_float_denorm_mode_16_64 3
		.amdhsa_dx10_clamp 1
		.amdhsa_ieee_mode 1
		.amdhsa_fp16_overflow 0
		.amdhsa_workgroup_processor_mode 1
		.amdhsa_memory_ordered 1
		.amdhsa_forward_progress 0
		.amdhsa_shared_vgpr_count 0
		.amdhsa_exception_fp_ieee_invalid_op 0
		.amdhsa_exception_fp_denorm_src 0
		.amdhsa_exception_fp_ieee_div_zero 0
		.amdhsa_exception_fp_ieee_overflow 0
		.amdhsa_exception_fp_ieee_underflow 0
		.amdhsa_exception_fp_ieee_inexact 0
		.amdhsa_exception_int_div_zero 0
	.end_amdhsa_kernel
	.section	.text._ZL19rocblas_sbmv_kernelILb0ELi64ELi16EdPKPKdPKPdEviiT2_lT3_lllS8_lllS7_lT4_llli,"axG",@progbits,_ZL19rocblas_sbmv_kernelILb0ELi64ELi16EdPKPKdPKPdEviiT2_lT3_lllS8_lllS7_lT4_llli,comdat
.Lfunc_end15:
	.size	_ZL19rocblas_sbmv_kernelILb0ELi64ELi16EdPKPKdPKPdEviiT2_lT3_lllS8_lllS7_lT4_llli, .Lfunc_end15-_ZL19rocblas_sbmv_kernelILb0ELi64ELi16EdPKPKdPKPdEviiT2_lT3_lllS8_lllS7_lT4_llli
                                        ; -- End function
	.section	.AMDGPU.csdata,"",@progbits
; Kernel info:
; codeLenInByte = 1772
; NumSgprs: 30
; NumVgprs: 21
; ScratchSize: 0
; MemoryBound: 1
; FloatMode: 240
; IeeeMode: 1
; LDSByteSize: 8192 bytes/workgroup (compile time only)
; SGPRBlocks: 3
; VGPRBlocks: 2
; NumSGPRsForWavesPerEU: 30
; NumVGPRsForWavesPerEU: 21
; Occupancy: 16
; WaveLimiterHint : 1
; COMPUTE_PGM_RSRC2:SCRATCH_EN: 0
; COMPUTE_PGM_RSRC2:USER_SGPR: 14
; COMPUTE_PGM_RSRC2:TRAP_HANDLER: 0
; COMPUTE_PGM_RSRC2:TGID_X_EN: 1
; COMPUTE_PGM_RSRC2:TGID_Y_EN: 0
; COMPUTE_PGM_RSRC2:TGID_Z_EN: 1
; COMPUTE_PGM_RSRC2:TIDIG_COMP_CNT: 1
	.text
	.p2alignl 7, 3214868480
	.fill 96, 4, 3214868480
	.type	__hip_cuid_355c3e7dd9a145ab,@object ; @__hip_cuid_355c3e7dd9a145ab
	.section	.bss,"aw",@nobits
	.globl	__hip_cuid_355c3e7dd9a145ab
__hip_cuid_355c3e7dd9a145ab:
	.byte	0                               ; 0x0
	.size	__hip_cuid_355c3e7dd9a145ab, 1

	.ident	"AMD clang version 19.0.0git (https://github.com/RadeonOpenCompute/llvm-project roc-6.4.0 25133 c7fe45cf4b819c5991fe208aaa96edf142730f1d)"
	.section	".note.GNU-stack","",@progbits
	.addrsig
	.addrsig_sym __hip_cuid_355c3e7dd9a145ab
	.amdgpu_metadata
---
amdhsa.kernels:
  - .args:
      - .offset:         0
        .size:           4
        .value_kind:     by_value
      - .offset:         4
        .size:           4
        .value_kind:     by_value
      - .address_space:  global
        .offset:         8
        .size:           8
        .value_kind:     global_buffer
      - .offset:         16
        .size:           8
        .value_kind:     by_value
      - .address_space:  global
        .offset:         24
        .size:           8
        .value_kind:     global_buffer
      - .offset:         32
        .size:           8
        .value_kind:     by_value
      - .offset:         40
        .size:           8
        .value_kind:     by_value
      - .offset:         48
        .size:           8
        .value_kind:     by_value
      - .address_space:  global
        .offset:         56
        .size:           8
        .value_kind:     global_buffer
      - .offset:         64
        .size:           8
        .value_kind:     by_value
      - .offset:         72
        .size:           8
        .value_kind:     by_value
      - .offset:         80
        .size:           8
        .value_kind:     by_value
      - .address_space:  global
        .offset:         88
        .size:           8
        .value_kind:     global_buffer
      - .offset:         96
        .size:           8
        .value_kind:     by_value
      - .address_space:  global
        .offset:         104
        .size:           8
        .value_kind:     global_buffer
      - .offset:         112
        .size:           8
        .value_kind:     by_value
      - .offset:         120
        .size:           8
        .value_kind:     by_value
      - .offset:         128
        .size:           8
        .value_kind:     by_value
      - .offset:         136
        .size:           4
        .value_kind:     by_value
      - .offset:         144
        .size:           4
        .value_kind:     hidden_block_count_x
      - .offset:         148
        .size:           4
        .value_kind:     hidden_block_count_y
      - .offset:         152
        .size:           4
        .value_kind:     hidden_block_count_z
      - .offset:         156
        .size:           2
        .value_kind:     hidden_group_size_x
      - .offset:         158
        .size:           2
        .value_kind:     hidden_group_size_y
      - .offset:         160
        .size:           2
        .value_kind:     hidden_group_size_z
      - .offset:         162
        .size:           2
        .value_kind:     hidden_remainder_x
      - .offset:         164
        .size:           2
        .value_kind:     hidden_remainder_y
      - .offset:         166
        .size:           2
        .value_kind:     hidden_remainder_z
      - .offset:         184
        .size:           8
        .value_kind:     hidden_global_offset_x
      - .offset:         192
        .size:           8
        .value_kind:     hidden_global_offset_y
      - .offset:         200
        .size:           8
        .value_kind:     hidden_global_offset_z
      - .offset:         208
        .size:           2
        .value_kind:     hidden_grid_dims
    .group_segment_fixed_size: 4096
    .kernarg_segment_align: 8
    .kernarg_segment_size: 400
    .language:       OpenCL C
    .language_version:
      - 2
      - 0
    .max_flat_workgroup_size: 1024
    .name:           _ZL19rocblas_sbmv_kernelILb1ELi64ELi16EPKfS1_PfEviiT2_lT3_lllS4_lllS3_lT4_llli
    .private_segment_fixed_size: 0
    .sgpr_count:     54
    .sgpr_spill_count: 0
    .symbol:         _ZL19rocblas_sbmv_kernelILb1ELi64ELi16EPKfS1_PfEviiT2_lT3_lllS4_lllS3_lT4_llli.kd
    .uniform_work_group_size: 1
    .uses_dynamic_stack: false
    .vgpr_count:     20
    .vgpr_spill_count: 0
    .wavefront_size: 32
    .workgroup_processor_mode: 1
  - .args:
      - .offset:         0
        .size:           4
        .value_kind:     by_value
      - .offset:         4
        .size:           4
        .value_kind:     by_value
      - .address_space:  global
        .offset:         8
        .size:           8
        .value_kind:     global_buffer
      - .offset:         16
        .size:           8
        .value_kind:     by_value
      - .address_space:  global
        .offset:         24
        .size:           8
        .value_kind:     global_buffer
      - .offset:         32
        .size:           8
        .value_kind:     by_value
      - .offset:         40
        .size:           8
        .value_kind:     by_value
      - .offset:         48
        .size:           8
        .value_kind:     by_value
      - .address_space:  global
        .offset:         56
        .size:           8
        .value_kind:     global_buffer
      - .offset:         64
        .size:           8
        .value_kind:     by_value
      - .offset:         72
        .size:           8
        .value_kind:     by_value
      - .offset:         80
        .size:           8
        .value_kind:     by_value
      - .address_space:  global
        .offset:         88
        .size:           8
        .value_kind:     global_buffer
      - .offset:         96
        .size:           8
        .value_kind:     by_value
      - .address_space:  global
        .offset:         104
        .size:           8
        .value_kind:     global_buffer
      - .offset:         112
        .size:           8
        .value_kind:     by_value
      - .offset:         120
        .size:           8
        .value_kind:     by_value
      - .offset:         128
        .size:           8
        .value_kind:     by_value
      - .offset:         136
        .size:           4
        .value_kind:     by_value
      - .offset:         144
        .size:           4
        .value_kind:     hidden_block_count_x
      - .offset:         148
        .size:           4
        .value_kind:     hidden_block_count_y
      - .offset:         152
        .size:           4
        .value_kind:     hidden_block_count_z
      - .offset:         156
        .size:           2
        .value_kind:     hidden_group_size_x
      - .offset:         158
        .size:           2
        .value_kind:     hidden_group_size_y
      - .offset:         160
        .size:           2
        .value_kind:     hidden_group_size_z
      - .offset:         162
        .size:           2
        .value_kind:     hidden_remainder_x
      - .offset:         164
        .size:           2
        .value_kind:     hidden_remainder_y
      - .offset:         166
        .size:           2
        .value_kind:     hidden_remainder_z
      - .offset:         184
        .size:           8
        .value_kind:     hidden_global_offset_x
      - .offset:         192
        .size:           8
        .value_kind:     hidden_global_offset_y
      - .offset:         200
        .size:           8
        .value_kind:     hidden_global_offset_z
      - .offset:         208
        .size:           2
        .value_kind:     hidden_grid_dims
    .group_segment_fixed_size: 4096
    .kernarg_segment_align: 8
    .kernarg_segment_size: 400
    .language:       OpenCL C
    .language_version:
      - 2
      - 0
    .max_flat_workgroup_size: 1024
    .name:           _ZL19rocblas_sbmv_kernelILb0ELi64ELi16EPKfS1_PfEviiT2_lT3_lllS4_lllS3_lT4_llli
    .private_segment_fixed_size: 0
    .sgpr_count:     54
    .sgpr_spill_count: 0
    .symbol:         _ZL19rocblas_sbmv_kernelILb0ELi64ELi16EPKfS1_PfEviiT2_lT3_lllS4_lllS3_lT4_llli.kd
    .uniform_work_group_size: 1
    .uses_dynamic_stack: false
    .vgpr_count:     20
    .vgpr_spill_count: 0
    .wavefront_size: 32
    .workgroup_processor_mode: 1
  - .args:
      - .offset:         0
        .size:           4
        .value_kind:     by_value
      - .offset:         4
        .size:           4
        .value_kind:     by_value
      - .offset:         8
        .size:           4
        .value_kind:     by_value
      - .offset:         16
        .size:           8
        .value_kind:     by_value
      - .address_space:  global
        .offset:         24
        .size:           8
        .value_kind:     global_buffer
      - .offset:         32
        .size:           8
        .value_kind:     by_value
      - .offset:         40
        .size:           8
        .value_kind:     by_value
      - .offset:         48
        .size:           8
        .value_kind:     by_value
      - .address_space:  global
        .offset:         56
        .size:           8
        .value_kind:     global_buffer
      - .offset:         64
        .size:           8
        .value_kind:     by_value
      - .offset:         72
        .size:           8
        .value_kind:     by_value
      - .offset:         80
        .size:           8
        .value_kind:     by_value
      - .offset:         88
        .size:           4
        .value_kind:     by_value
      - .offset:         96
        .size:           8
        .value_kind:     by_value
      - .address_space:  global
        .offset:         104
        .size:           8
        .value_kind:     global_buffer
      - .offset:         112
        .size:           8
        .value_kind:     by_value
      - .offset:         120
        .size:           8
        .value_kind:     by_value
      - .offset:         128
        .size:           8
        .value_kind:     by_value
      - .offset:         136
        .size:           4
        .value_kind:     by_value
      - .offset:         144
        .size:           4
        .value_kind:     hidden_block_count_x
      - .offset:         148
        .size:           4
        .value_kind:     hidden_block_count_y
      - .offset:         152
        .size:           4
        .value_kind:     hidden_block_count_z
      - .offset:         156
        .size:           2
        .value_kind:     hidden_group_size_x
      - .offset:         158
        .size:           2
        .value_kind:     hidden_group_size_y
      - .offset:         160
        .size:           2
        .value_kind:     hidden_group_size_z
      - .offset:         162
        .size:           2
        .value_kind:     hidden_remainder_x
      - .offset:         164
        .size:           2
        .value_kind:     hidden_remainder_y
      - .offset:         166
        .size:           2
        .value_kind:     hidden_remainder_z
      - .offset:         184
        .size:           8
        .value_kind:     hidden_global_offset_x
      - .offset:         192
        .size:           8
        .value_kind:     hidden_global_offset_y
      - .offset:         200
        .size:           8
        .value_kind:     hidden_global_offset_z
      - .offset:         208
        .size:           2
        .value_kind:     hidden_grid_dims
    .group_segment_fixed_size: 4096
    .kernarg_segment_align: 8
    .kernarg_segment_size: 400
    .language:       OpenCL C
    .language_version:
      - 2
      - 0
    .max_flat_workgroup_size: 1024
    .name:           _ZL19rocblas_sbmv_kernelILb1ELi64ELi16EfPKfPfEviiT2_lT3_lllS4_lllS3_lT4_llli
    .private_segment_fixed_size: 0
    .sgpr_count:     42
    .sgpr_spill_count: 0
    .symbol:         _ZL19rocblas_sbmv_kernelILb1ELi64ELi16EfPKfPfEviiT2_lT3_lllS4_lllS3_lT4_llli.kd
    .uniform_work_group_size: 1
    .uses_dynamic_stack: false
    .vgpr_count:     20
    .vgpr_spill_count: 0
    .wavefront_size: 32
    .workgroup_processor_mode: 1
  - .args:
      - .offset:         0
        .size:           4
        .value_kind:     by_value
      - .offset:         4
        .size:           4
        .value_kind:     by_value
      - .offset:         8
        .size:           4
        .value_kind:     by_value
      - .offset:         16
        .size:           8
        .value_kind:     by_value
      - .address_space:  global
        .offset:         24
        .size:           8
        .value_kind:     global_buffer
      - .offset:         32
        .size:           8
        .value_kind:     by_value
      - .offset:         40
        .size:           8
        .value_kind:     by_value
      - .offset:         48
        .size:           8
        .value_kind:     by_value
      - .address_space:  global
        .offset:         56
        .size:           8
        .value_kind:     global_buffer
      - .offset:         64
        .size:           8
        .value_kind:     by_value
      - .offset:         72
        .size:           8
        .value_kind:     by_value
      - .offset:         80
        .size:           8
        .value_kind:     by_value
      - .offset:         88
        .size:           4
        .value_kind:     by_value
      - .offset:         96
        .size:           8
        .value_kind:     by_value
      - .address_space:  global
        .offset:         104
        .size:           8
        .value_kind:     global_buffer
      - .offset:         112
        .size:           8
        .value_kind:     by_value
      - .offset:         120
        .size:           8
        .value_kind:     by_value
      - .offset:         128
        .size:           8
        .value_kind:     by_value
      - .offset:         136
        .size:           4
        .value_kind:     by_value
      - .offset:         144
        .size:           4
        .value_kind:     hidden_block_count_x
      - .offset:         148
        .size:           4
        .value_kind:     hidden_block_count_y
      - .offset:         152
        .size:           4
        .value_kind:     hidden_block_count_z
      - .offset:         156
        .size:           2
        .value_kind:     hidden_group_size_x
      - .offset:         158
        .size:           2
        .value_kind:     hidden_group_size_y
      - .offset:         160
        .size:           2
        .value_kind:     hidden_group_size_z
      - .offset:         162
        .size:           2
        .value_kind:     hidden_remainder_x
      - .offset:         164
        .size:           2
        .value_kind:     hidden_remainder_y
      - .offset:         166
        .size:           2
        .value_kind:     hidden_remainder_z
      - .offset:         184
        .size:           8
        .value_kind:     hidden_global_offset_x
      - .offset:         192
        .size:           8
        .value_kind:     hidden_global_offset_y
      - .offset:         200
        .size:           8
        .value_kind:     hidden_global_offset_z
      - .offset:         208
        .size:           2
        .value_kind:     hidden_grid_dims
    .group_segment_fixed_size: 4096
    .kernarg_segment_align: 8
    .kernarg_segment_size: 400
    .language:       OpenCL C
    .language_version:
      - 2
      - 0
    .max_flat_workgroup_size: 1024
    .name:           _ZL19rocblas_sbmv_kernelILb0ELi64ELi16EfPKfPfEviiT2_lT3_lllS4_lllS3_lT4_llli
    .private_segment_fixed_size: 0
    .sgpr_count:     42
    .sgpr_spill_count: 0
    .symbol:         _ZL19rocblas_sbmv_kernelILb0ELi64ELi16EfPKfPfEviiT2_lT3_lllS4_lllS3_lT4_llli.kd
    .uniform_work_group_size: 1
    .uses_dynamic_stack: false
    .vgpr_count:     20
    .vgpr_spill_count: 0
    .wavefront_size: 32
    .workgroup_processor_mode: 1
  - .args:
      - .offset:         0
        .size:           4
        .value_kind:     by_value
      - .offset:         4
        .size:           4
        .value_kind:     by_value
      - .address_space:  global
        .offset:         8
        .size:           8
        .value_kind:     global_buffer
      - .offset:         16
        .size:           8
        .value_kind:     by_value
      - .address_space:  global
        .offset:         24
        .size:           8
        .value_kind:     global_buffer
      - .offset:         32
        .size:           8
        .value_kind:     by_value
      - .offset:         40
        .size:           8
        .value_kind:     by_value
      - .offset:         48
        .size:           8
        .value_kind:     by_value
      - .address_space:  global
        .offset:         56
        .size:           8
        .value_kind:     global_buffer
      - .offset:         64
        .size:           8
        .value_kind:     by_value
      - .offset:         72
        .size:           8
        .value_kind:     by_value
      - .offset:         80
        .size:           8
        .value_kind:     by_value
      - .address_space:  global
        .offset:         88
        .size:           8
        .value_kind:     global_buffer
      - .offset:         96
        .size:           8
        .value_kind:     by_value
      - .address_space:  global
        .offset:         104
        .size:           8
        .value_kind:     global_buffer
      - .offset:         112
        .size:           8
        .value_kind:     by_value
      - .offset:         120
        .size:           8
        .value_kind:     by_value
      - .offset:         128
        .size:           8
        .value_kind:     by_value
      - .offset:         136
        .size:           4
        .value_kind:     by_value
      - .offset:         144
        .size:           4
        .value_kind:     hidden_block_count_x
      - .offset:         148
        .size:           4
        .value_kind:     hidden_block_count_y
      - .offset:         152
        .size:           4
        .value_kind:     hidden_block_count_z
      - .offset:         156
        .size:           2
        .value_kind:     hidden_group_size_x
      - .offset:         158
        .size:           2
        .value_kind:     hidden_group_size_y
      - .offset:         160
        .size:           2
        .value_kind:     hidden_group_size_z
      - .offset:         162
        .size:           2
        .value_kind:     hidden_remainder_x
      - .offset:         164
        .size:           2
        .value_kind:     hidden_remainder_y
      - .offset:         166
        .size:           2
        .value_kind:     hidden_remainder_z
      - .offset:         184
        .size:           8
        .value_kind:     hidden_global_offset_x
      - .offset:         192
        .size:           8
        .value_kind:     hidden_global_offset_y
      - .offset:         200
        .size:           8
        .value_kind:     hidden_global_offset_z
      - .offset:         208
        .size:           2
        .value_kind:     hidden_grid_dims
    .group_segment_fixed_size: 8192
    .kernarg_segment_align: 8
    .kernarg_segment_size: 400
    .language:       OpenCL C
    .language_version:
      - 2
      - 0
    .max_flat_workgroup_size: 1024
    .name:           _ZL19rocblas_sbmv_kernelILb1ELi64ELi16EPKdS1_PdEviiT2_lT3_lllS4_lllS3_lT4_llli
    .private_segment_fixed_size: 0
    .sgpr_count:     54
    .sgpr_spill_count: 0
    .symbol:         _ZL19rocblas_sbmv_kernelILb1ELi64ELi16EPKdS1_PdEviiT2_lT3_lllS4_lllS3_lT4_llli.kd
    .uniform_work_group_size: 1
    .uses_dynamic_stack: false
    .vgpr_count:     21
    .vgpr_spill_count: 0
    .wavefront_size: 32
    .workgroup_processor_mode: 1
  - .args:
      - .offset:         0
        .size:           4
        .value_kind:     by_value
      - .offset:         4
        .size:           4
        .value_kind:     by_value
      - .address_space:  global
        .offset:         8
        .size:           8
        .value_kind:     global_buffer
      - .offset:         16
        .size:           8
        .value_kind:     by_value
      - .address_space:  global
        .offset:         24
        .size:           8
        .value_kind:     global_buffer
      - .offset:         32
        .size:           8
        .value_kind:     by_value
      - .offset:         40
        .size:           8
        .value_kind:     by_value
      - .offset:         48
        .size:           8
        .value_kind:     by_value
      - .address_space:  global
        .offset:         56
        .size:           8
        .value_kind:     global_buffer
      - .offset:         64
        .size:           8
        .value_kind:     by_value
      - .offset:         72
        .size:           8
        .value_kind:     by_value
      - .offset:         80
        .size:           8
        .value_kind:     by_value
      - .address_space:  global
        .offset:         88
        .size:           8
        .value_kind:     global_buffer
      - .offset:         96
        .size:           8
        .value_kind:     by_value
      - .address_space:  global
        .offset:         104
        .size:           8
        .value_kind:     global_buffer
      - .offset:         112
        .size:           8
        .value_kind:     by_value
      - .offset:         120
        .size:           8
        .value_kind:     by_value
      - .offset:         128
        .size:           8
        .value_kind:     by_value
      - .offset:         136
        .size:           4
        .value_kind:     by_value
      - .offset:         144
        .size:           4
        .value_kind:     hidden_block_count_x
      - .offset:         148
        .size:           4
        .value_kind:     hidden_block_count_y
      - .offset:         152
        .size:           4
        .value_kind:     hidden_block_count_z
      - .offset:         156
        .size:           2
        .value_kind:     hidden_group_size_x
      - .offset:         158
        .size:           2
        .value_kind:     hidden_group_size_y
      - .offset:         160
        .size:           2
        .value_kind:     hidden_group_size_z
      - .offset:         162
        .size:           2
        .value_kind:     hidden_remainder_x
      - .offset:         164
        .size:           2
        .value_kind:     hidden_remainder_y
      - .offset:         166
        .size:           2
        .value_kind:     hidden_remainder_z
      - .offset:         184
        .size:           8
        .value_kind:     hidden_global_offset_x
      - .offset:         192
        .size:           8
        .value_kind:     hidden_global_offset_y
      - .offset:         200
        .size:           8
        .value_kind:     hidden_global_offset_z
      - .offset:         208
        .size:           2
        .value_kind:     hidden_grid_dims
    .group_segment_fixed_size: 8192
    .kernarg_segment_align: 8
    .kernarg_segment_size: 400
    .language:       OpenCL C
    .language_version:
      - 2
      - 0
    .max_flat_workgroup_size: 1024
    .name:           _ZL19rocblas_sbmv_kernelILb0ELi64ELi16EPKdS1_PdEviiT2_lT3_lllS4_lllS3_lT4_llli
    .private_segment_fixed_size: 0
    .sgpr_count:     54
    .sgpr_spill_count: 0
    .symbol:         _ZL19rocblas_sbmv_kernelILb0ELi64ELi16EPKdS1_PdEviiT2_lT3_lllS4_lllS3_lT4_llli.kd
    .uniform_work_group_size: 1
    .uses_dynamic_stack: false
    .vgpr_count:     21
    .vgpr_spill_count: 0
    .wavefront_size: 32
    .workgroup_processor_mode: 1
  - .args:
      - .offset:         0
        .size:           4
        .value_kind:     by_value
      - .offset:         4
        .size:           4
        .value_kind:     by_value
      - .offset:         8
        .size:           8
        .value_kind:     by_value
      - .offset:         16
        .size:           8
        .value_kind:     by_value
      - .address_space:  global
        .offset:         24
        .size:           8
        .value_kind:     global_buffer
      - .offset:         32
        .size:           8
        .value_kind:     by_value
      - .offset:         40
        .size:           8
        .value_kind:     by_value
      - .offset:         48
        .size:           8
        .value_kind:     by_value
      - .address_space:  global
        .offset:         56
        .size:           8
        .value_kind:     global_buffer
      - .offset:         64
        .size:           8
        .value_kind:     by_value
      - .offset:         72
        .size:           8
        .value_kind:     by_value
      - .offset:         80
        .size:           8
        .value_kind:     by_value
      - .offset:         88
        .size:           8
        .value_kind:     by_value
      - .offset:         96
        .size:           8
        .value_kind:     by_value
      - .address_space:  global
        .offset:         104
        .size:           8
        .value_kind:     global_buffer
      - .offset:         112
        .size:           8
        .value_kind:     by_value
      - .offset:         120
        .size:           8
        .value_kind:     by_value
      - .offset:         128
        .size:           8
        .value_kind:     by_value
      - .offset:         136
        .size:           4
        .value_kind:     by_value
      - .offset:         144
        .size:           4
        .value_kind:     hidden_block_count_x
      - .offset:         148
        .size:           4
        .value_kind:     hidden_block_count_y
      - .offset:         152
        .size:           4
        .value_kind:     hidden_block_count_z
      - .offset:         156
        .size:           2
        .value_kind:     hidden_group_size_x
      - .offset:         158
        .size:           2
        .value_kind:     hidden_group_size_y
      - .offset:         160
        .size:           2
        .value_kind:     hidden_group_size_z
      - .offset:         162
        .size:           2
        .value_kind:     hidden_remainder_x
      - .offset:         164
        .size:           2
        .value_kind:     hidden_remainder_y
      - .offset:         166
        .size:           2
        .value_kind:     hidden_remainder_z
      - .offset:         184
        .size:           8
        .value_kind:     hidden_global_offset_x
      - .offset:         192
        .size:           8
        .value_kind:     hidden_global_offset_y
      - .offset:         200
        .size:           8
        .value_kind:     hidden_global_offset_z
      - .offset:         208
        .size:           2
        .value_kind:     hidden_grid_dims
    .group_segment_fixed_size: 8192
    .kernarg_segment_align: 8
    .kernarg_segment_size: 400
    .language:       OpenCL C
    .language_version:
      - 2
      - 0
    .max_flat_workgroup_size: 1024
    .name:           _ZL19rocblas_sbmv_kernelILb1ELi64ELi16EdPKdPdEviiT2_lT3_lllS4_lllS3_lT4_llli
    .private_segment_fixed_size: 0
    .sgpr_count:     40
    .sgpr_spill_count: 0
    .symbol:         _ZL19rocblas_sbmv_kernelILb1ELi64ELi16EdPKdPdEviiT2_lT3_lllS4_lllS3_lT4_llli.kd
    .uniform_work_group_size: 1
    .uses_dynamic_stack: false
    .vgpr_count:     21
    .vgpr_spill_count: 0
    .wavefront_size: 32
    .workgroup_processor_mode: 1
  - .args:
      - .offset:         0
        .size:           4
        .value_kind:     by_value
      - .offset:         4
        .size:           4
        .value_kind:     by_value
      - .offset:         8
        .size:           8
        .value_kind:     by_value
      - .offset:         16
        .size:           8
        .value_kind:     by_value
      - .address_space:  global
        .offset:         24
        .size:           8
        .value_kind:     global_buffer
      - .offset:         32
        .size:           8
        .value_kind:     by_value
      - .offset:         40
        .size:           8
        .value_kind:     by_value
      - .offset:         48
        .size:           8
        .value_kind:     by_value
      - .address_space:  global
        .offset:         56
        .size:           8
        .value_kind:     global_buffer
      - .offset:         64
        .size:           8
        .value_kind:     by_value
      - .offset:         72
        .size:           8
        .value_kind:     by_value
      - .offset:         80
        .size:           8
        .value_kind:     by_value
      - .offset:         88
        .size:           8
        .value_kind:     by_value
      - .offset:         96
        .size:           8
        .value_kind:     by_value
      - .address_space:  global
        .offset:         104
        .size:           8
        .value_kind:     global_buffer
      - .offset:         112
        .size:           8
        .value_kind:     by_value
      - .offset:         120
        .size:           8
        .value_kind:     by_value
      - .offset:         128
        .size:           8
        .value_kind:     by_value
      - .offset:         136
        .size:           4
        .value_kind:     by_value
      - .offset:         144
        .size:           4
        .value_kind:     hidden_block_count_x
      - .offset:         148
        .size:           4
        .value_kind:     hidden_block_count_y
      - .offset:         152
        .size:           4
        .value_kind:     hidden_block_count_z
      - .offset:         156
        .size:           2
        .value_kind:     hidden_group_size_x
      - .offset:         158
        .size:           2
        .value_kind:     hidden_group_size_y
      - .offset:         160
        .size:           2
        .value_kind:     hidden_group_size_z
      - .offset:         162
        .size:           2
        .value_kind:     hidden_remainder_x
      - .offset:         164
        .size:           2
        .value_kind:     hidden_remainder_y
      - .offset:         166
        .size:           2
        .value_kind:     hidden_remainder_z
      - .offset:         184
        .size:           8
        .value_kind:     hidden_global_offset_x
      - .offset:         192
        .size:           8
        .value_kind:     hidden_global_offset_y
      - .offset:         200
        .size:           8
        .value_kind:     hidden_global_offset_z
      - .offset:         208
        .size:           2
        .value_kind:     hidden_grid_dims
    .group_segment_fixed_size: 8192
    .kernarg_segment_align: 8
    .kernarg_segment_size: 400
    .language:       OpenCL C
    .language_version:
      - 2
      - 0
    .max_flat_workgroup_size: 1024
    .name:           _ZL19rocblas_sbmv_kernelILb0ELi64ELi16EdPKdPdEviiT2_lT3_lllS4_lllS3_lT4_llli
    .private_segment_fixed_size: 0
    .sgpr_count:     40
    .sgpr_spill_count: 0
    .symbol:         _ZL19rocblas_sbmv_kernelILb0ELi64ELi16EdPKdPdEviiT2_lT3_lllS4_lllS3_lT4_llli.kd
    .uniform_work_group_size: 1
    .uses_dynamic_stack: false
    .vgpr_count:     21
    .vgpr_spill_count: 0
    .wavefront_size: 32
    .workgroup_processor_mode: 1
  - .args:
      - .offset:         0
        .size:           4
        .value_kind:     by_value
      - .offset:         4
        .size:           4
        .value_kind:     by_value
      - .address_space:  global
        .offset:         8
        .size:           8
        .value_kind:     global_buffer
      - .offset:         16
        .size:           8
        .value_kind:     by_value
      - .address_space:  global
        .offset:         24
        .size:           8
        .value_kind:     global_buffer
      - .offset:         32
        .size:           8
        .value_kind:     by_value
      - .offset:         40
        .size:           8
        .value_kind:     by_value
      - .offset:         48
        .size:           8
        .value_kind:     by_value
      - .address_space:  global
        .offset:         56
        .size:           8
        .value_kind:     global_buffer
      - .offset:         64
        .size:           8
        .value_kind:     by_value
      - .offset:         72
        .size:           8
        .value_kind:     by_value
      - .offset:         80
        .size:           8
        .value_kind:     by_value
      - .address_space:  global
        .offset:         88
        .size:           8
        .value_kind:     global_buffer
      - .offset:         96
        .size:           8
        .value_kind:     by_value
      - .address_space:  global
        .offset:         104
        .size:           8
        .value_kind:     global_buffer
      - .offset:         112
        .size:           8
        .value_kind:     by_value
      - .offset:         120
        .size:           8
        .value_kind:     by_value
      - .offset:         128
        .size:           8
        .value_kind:     by_value
      - .offset:         136
        .size:           4
        .value_kind:     by_value
      - .offset:         144
        .size:           4
        .value_kind:     hidden_block_count_x
      - .offset:         148
        .size:           4
        .value_kind:     hidden_block_count_y
      - .offset:         152
        .size:           4
        .value_kind:     hidden_block_count_z
      - .offset:         156
        .size:           2
        .value_kind:     hidden_group_size_x
      - .offset:         158
        .size:           2
        .value_kind:     hidden_group_size_y
      - .offset:         160
        .size:           2
        .value_kind:     hidden_group_size_z
      - .offset:         162
        .size:           2
        .value_kind:     hidden_remainder_x
      - .offset:         164
        .size:           2
        .value_kind:     hidden_remainder_y
      - .offset:         166
        .size:           2
        .value_kind:     hidden_remainder_z
      - .offset:         184
        .size:           8
        .value_kind:     hidden_global_offset_x
      - .offset:         192
        .size:           8
        .value_kind:     hidden_global_offset_y
      - .offset:         200
        .size:           8
        .value_kind:     hidden_global_offset_z
      - .offset:         208
        .size:           2
        .value_kind:     hidden_grid_dims
    .group_segment_fixed_size: 4096
    .kernarg_segment_align: 8
    .kernarg_segment_size: 400
    .language:       OpenCL C
    .language_version:
      - 2
      - 0
    .max_flat_workgroup_size: 1024
    .name:           _ZL19rocblas_sbmv_kernelILb1ELi64ELi16EPKfPKS1_PKPfEviiT2_lT3_lllS8_lllS7_lT4_llli
    .private_segment_fixed_size: 0
    .sgpr_count:     34
    .sgpr_spill_count: 0
    .symbol:         _ZL19rocblas_sbmv_kernelILb1ELi64ELi16EPKfPKS1_PKPfEviiT2_lT3_lllS8_lllS7_lT4_llli.kd
    .uniform_work_group_size: 1
    .uses_dynamic_stack: false
    .vgpr_count:     20
    .vgpr_spill_count: 0
    .wavefront_size: 32
    .workgroup_processor_mode: 1
  - .args:
      - .offset:         0
        .size:           4
        .value_kind:     by_value
      - .offset:         4
        .size:           4
        .value_kind:     by_value
      - .address_space:  global
        .offset:         8
        .size:           8
        .value_kind:     global_buffer
      - .offset:         16
        .size:           8
        .value_kind:     by_value
      - .address_space:  global
        .offset:         24
        .size:           8
        .value_kind:     global_buffer
      - .offset:         32
        .size:           8
        .value_kind:     by_value
      - .offset:         40
        .size:           8
        .value_kind:     by_value
      - .offset:         48
        .size:           8
        .value_kind:     by_value
      - .address_space:  global
        .offset:         56
        .size:           8
        .value_kind:     global_buffer
      - .offset:         64
        .size:           8
        .value_kind:     by_value
      - .offset:         72
        .size:           8
        .value_kind:     by_value
      - .offset:         80
        .size:           8
        .value_kind:     by_value
      - .address_space:  global
        .offset:         88
        .size:           8
        .value_kind:     global_buffer
      - .offset:         96
        .size:           8
        .value_kind:     by_value
      - .address_space:  global
        .offset:         104
        .size:           8
        .value_kind:     global_buffer
      - .offset:         112
        .size:           8
        .value_kind:     by_value
      - .offset:         120
        .size:           8
        .value_kind:     by_value
      - .offset:         128
        .size:           8
        .value_kind:     by_value
      - .offset:         136
        .size:           4
        .value_kind:     by_value
      - .offset:         144
        .size:           4
        .value_kind:     hidden_block_count_x
      - .offset:         148
        .size:           4
        .value_kind:     hidden_block_count_y
      - .offset:         152
        .size:           4
        .value_kind:     hidden_block_count_z
      - .offset:         156
        .size:           2
        .value_kind:     hidden_group_size_x
      - .offset:         158
        .size:           2
        .value_kind:     hidden_group_size_y
      - .offset:         160
        .size:           2
        .value_kind:     hidden_group_size_z
      - .offset:         162
        .size:           2
        .value_kind:     hidden_remainder_x
      - .offset:         164
        .size:           2
        .value_kind:     hidden_remainder_y
      - .offset:         166
        .size:           2
        .value_kind:     hidden_remainder_z
      - .offset:         184
        .size:           8
        .value_kind:     hidden_global_offset_x
      - .offset:         192
        .size:           8
        .value_kind:     hidden_global_offset_y
      - .offset:         200
        .size:           8
        .value_kind:     hidden_global_offset_z
      - .offset:         208
        .size:           2
        .value_kind:     hidden_grid_dims
    .group_segment_fixed_size: 4096
    .kernarg_segment_align: 8
    .kernarg_segment_size: 400
    .language:       OpenCL C
    .language_version:
      - 2
      - 0
    .max_flat_workgroup_size: 1024
    .name:           _ZL19rocblas_sbmv_kernelILb0ELi64ELi16EPKfPKS1_PKPfEviiT2_lT3_lllS8_lllS7_lT4_llli
    .private_segment_fixed_size: 0
    .sgpr_count:     34
    .sgpr_spill_count: 0
    .symbol:         _ZL19rocblas_sbmv_kernelILb0ELi64ELi16EPKfPKS1_PKPfEviiT2_lT3_lllS8_lllS7_lT4_llli.kd
    .uniform_work_group_size: 1
    .uses_dynamic_stack: false
    .vgpr_count:     20
    .vgpr_spill_count: 0
    .wavefront_size: 32
    .workgroup_processor_mode: 1
  - .args:
      - .offset:         0
        .size:           4
        .value_kind:     by_value
      - .offset:         4
        .size:           4
        .value_kind:     by_value
      - .offset:         8
        .size:           4
        .value_kind:     by_value
      - .offset:         16
        .size:           8
        .value_kind:     by_value
      - .address_space:  global
        .offset:         24
        .size:           8
        .value_kind:     global_buffer
      - .offset:         32
        .size:           8
        .value_kind:     by_value
      - .offset:         40
        .size:           8
        .value_kind:     by_value
      - .offset:         48
        .size:           8
        .value_kind:     by_value
      - .address_space:  global
        .offset:         56
        .size:           8
        .value_kind:     global_buffer
      - .offset:         64
        .size:           8
        .value_kind:     by_value
      - .offset:         72
        .size:           8
        .value_kind:     by_value
      - .offset:         80
        .size:           8
        .value_kind:     by_value
      - .offset:         88
        .size:           4
        .value_kind:     by_value
      - .offset:         96
        .size:           8
        .value_kind:     by_value
      - .address_space:  global
        .offset:         104
        .size:           8
        .value_kind:     global_buffer
      - .offset:         112
        .size:           8
        .value_kind:     by_value
      - .offset:         120
        .size:           8
        .value_kind:     by_value
      - .offset:         128
        .size:           8
        .value_kind:     by_value
      - .offset:         136
        .size:           4
        .value_kind:     by_value
      - .offset:         144
        .size:           4
        .value_kind:     hidden_block_count_x
      - .offset:         148
        .size:           4
        .value_kind:     hidden_block_count_y
      - .offset:         152
        .size:           4
        .value_kind:     hidden_block_count_z
      - .offset:         156
        .size:           2
        .value_kind:     hidden_group_size_x
      - .offset:         158
        .size:           2
        .value_kind:     hidden_group_size_y
      - .offset:         160
        .size:           2
        .value_kind:     hidden_group_size_z
      - .offset:         162
        .size:           2
        .value_kind:     hidden_remainder_x
      - .offset:         164
        .size:           2
        .value_kind:     hidden_remainder_y
      - .offset:         166
        .size:           2
        .value_kind:     hidden_remainder_z
      - .offset:         184
        .size:           8
        .value_kind:     hidden_global_offset_x
      - .offset:         192
        .size:           8
        .value_kind:     hidden_global_offset_y
      - .offset:         200
        .size:           8
        .value_kind:     hidden_global_offset_z
      - .offset:         208
        .size:           2
        .value_kind:     hidden_grid_dims
    .group_segment_fixed_size: 4096
    .kernarg_segment_align: 8
    .kernarg_segment_size: 400
    .language:       OpenCL C
    .language_version:
      - 2
      - 0
    .max_flat_workgroup_size: 1024
    .name:           _ZL19rocblas_sbmv_kernelILb1ELi64ELi16EfPKPKfPKPfEviiT2_lT3_lllS8_lllS7_lT4_llli
    .private_segment_fixed_size: 0
    .sgpr_count:     30
    .sgpr_spill_count: 0
    .symbol:         _ZL19rocblas_sbmv_kernelILb1ELi64ELi16EfPKPKfPKPfEviiT2_lT3_lllS8_lllS7_lT4_llli.kd
    .uniform_work_group_size: 1
    .uses_dynamic_stack: false
    .vgpr_count:     20
    .vgpr_spill_count: 0
    .wavefront_size: 32
    .workgroup_processor_mode: 1
  - .args:
      - .offset:         0
        .size:           4
        .value_kind:     by_value
      - .offset:         4
        .size:           4
        .value_kind:     by_value
      - .offset:         8
        .size:           4
        .value_kind:     by_value
      - .offset:         16
        .size:           8
        .value_kind:     by_value
      - .address_space:  global
        .offset:         24
        .size:           8
        .value_kind:     global_buffer
      - .offset:         32
        .size:           8
        .value_kind:     by_value
      - .offset:         40
        .size:           8
        .value_kind:     by_value
      - .offset:         48
        .size:           8
        .value_kind:     by_value
      - .address_space:  global
        .offset:         56
        .size:           8
        .value_kind:     global_buffer
      - .offset:         64
        .size:           8
        .value_kind:     by_value
      - .offset:         72
        .size:           8
        .value_kind:     by_value
      - .offset:         80
        .size:           8
        .value_kind:     by_value
      - .offset:         88
        .size:           4
        .value_kind:     by_value
      - .offset:         96
        .size:           8
        .value_kind:     by_value
      - .address_space:  global
        .offset:         104
        .size:           8
        .value_kind:     global_buffer
      - .offset:         112
        .size:           8
        .value_kind:     by_value
      - .offset:         120
        .size:           8
        .value_kind:     by_value
      - .offset:         128
        .size:           8
        .value_kind:     by_value
      - .offset:         136
        .size:           4
        .value_kind:     by_value
      - .offset:         144
        .size:           4
        .value_kind:     hidden_block_count_x
      - .offset:         148
        .size:           4
        .value_kind:     hidden_block_count_y
      - .offset:         152
        .size:           4
        .value_kind:     hidden_block_count_z
      - .offset:         156
        .size:           2
        .value_kind:     hidden_group_size_x
      - .offset:         158
        .size:           2
        .value_kind:     hidden_group_size_y
      - .offset:         160
        .size:           2
        .value_kind:     hidden_group_size_z
      - .offset:         162
        .size:           2
        .value_kind:     hidden_remainder_x
      - .offset:         164
        .size:           2
        .value_kind:     hidden_remainder_y
      - .offset:         166
        .size:           2
        .value_kind:     hidden_remainder_z
      - .offset:         184
        .size:           8
        .value_kind:     hidden_global_offset_x
      - .offset:         192
        .size:           8
        .value_kind:     hidden_global_offset_y
      - .offset:         200
        .size:           8
        .value_kind:     hidden_global_offset_z
      - .offset:         208
        .size:           2
        .value_kind:     hidden_grid_dims
    .group_segment_fixed_size: 4096
    .kernarg_segment_align: 8
    .kernarg_segment_size: 400
    .language:       OpenCL C
    .language_version:
      - 2
      - 0
    .max_flat_workgroup_size: 1024
    .name:           _ZL19rocblas_sbmv_kernelILb0ELi64ELi16EfPKPKfPKPfEviiT2_lT3_lllS8_lllS7_lT4_llli
    .private_segment_fixed_size: 0
    .sgpr_count:     30
    .sgpr_spill_count: 0
    .symbol:         _ZL19rocblas_sbmv_kernelILb0ELi64ELi16EfPKPKfPKPfEviiT2_lT3_lllS8_lllS7_lT4_llli.kd
    .uniform_work_group_size: 1
    .uses_dynamic_stack: false
    .vgpr_count:     20
    .vgpr_spill_count: 0
    .wavefront_size: 32
    .workgroup_processor_mode: 1
  - .args:
      - .offset:         0
        .size:           4
        .value_kind:     by_value
      - .offset:         4
        .size:           4
        .value_kind:     by_value
      - .address_space:  global
        .offset:         8
        .size:           8
        .value_kind:     global_buffer
      - .offset:         16
        .size:           8
        .value_kind:     by_value
      - .address_space:  global
        .offset:         24
        .size:           8
        .value_kind:     global_buffer
      - .offset:         32
        .size:           8
        .value_kind:     by_value
      - .offset:         40
        .size:           8
        .value_kind:     by_value
      - .offset:         48
        .size:           8
        .value_kind:     by_value
      - .address_space:  global
        .offset:         56
        .size:           8
        .value_kind:     global_buffer
      - .offset:         64
        .size:           8
        .value_kind:     by_value
      - .offset:         72
        .size:           8
        .value_kind:     by_value
      - .offset:         80
        .size:           8
        .value_kind:     by_value
      - .address_space:  global
        .offset:         88
        .size:           8
        .value_kind:     global_buffer
      - .offset:         96
        .size:           8
        .value_kind:     by_value
      - .address_space:  global
        .offset:         104
        .size:           8
        .value_kind:     global_buffer
      - .offset:         112
        .size:           8
        .value_kind:     by_value
      - .offset:         120
        .size:           8
        .value_kind:     by_value
      - .offset:         128
        .size:           8
        .value_kind:     by_value
      - .offset:         136
        .size:           4
        .value_kind:     by_value
      - .offset:         144
        .size:           4
        .value_kind:     hidden_block_count_x
      - .offset:         148
        .size:           4
        .value_kind:     hidden_block_count_y
      - .offset:         152
        .size:           4
        .value_kind:     hidden_block_count_z
      - .offset:         156
        .size:           2
        .value_kind:     hidden_group_size_x
      - .offset:         158
        .size:           2
        .value_kind:     hidden_group_size_y
      - .offset:         160
        .size:           2
        .value_kind:     hidden_group_size_z
      - .offset:         162
        .size:           2
        .value_kind:     hidden_remainder_x
      - .offset:         164
        .size:           2
        .value_kind:     hidden_remainder_y
      - .offset:         166
        .size:           2
        .value_kind:     hidden_remainder_z
      - .offset:         184
        .size:           8
        .value_kind:     hidden_global_offset_x
      - .offset:         192
        .size:           8
        .value_kind:     hidden_global_offset_y
      - .offset:         200
        .size:           8
        .value_kind:     hidden_global_offset_z
      - .offset:         208
        .size:           2
        .value_kind:     hidden_grid_dims
    .group_segment_fixed_size: 8192
    .kernarg_segment_align: 8
    .kernarg_segment_size: 400
    .language:       OpenCL C
    .language_version:
      - 2
      - 0
    .max_flat_workgroup_size: 1024
    .name:           _ZL19rocblas_sbmv_kernelILb1ELi64ELi16EPKdPKS1_PKPdEviiT2_lT3_lllS8_lllS7_lT4_llli
    .private_segment_fixed_size: 0
    .sgpr_count:     34
    .sgpr_spill_count: 0
    .symbol:         _ZL19rocblas_sbmv_kernelILb1ELi64ELi16EPKdPKS1_PKPdEviiT2_lT3_lllS8_lllS7_lT4_llli.kd
    .uniform_work_group_size: 1
    .uses_dynamic_stack: false
    .vgpr_count:     21
    .vgpr_spill_count: 0
    .wavefront_size: 32
    .workgroup_processor_mode: 1
  - .args:
      - .offset:         0
        .size:           4
        .value_kind:     by_value
      - .offset:         4
        .size:           4
        .value_kind:     by_value
      - .address_space:  global
        .offset:         8
        .size:           8
        .value_kind:     global_buffer
      - .offset:         16
        .size:           8
        .value_kind:     by_value
      - .address_space:  global
        .offset:         24
        .size:           8
        .value_kind:     global_buffer
      - .offset:         32
        .size:           8
        .value_kind:     by_value
      - .offset:         40
        .size:           8
        .value_kind:     by_value
      - .offset:         48
        .size:           8
        .value_kind:     by_value
      - .address_space:  global
        .offset:         56
        .size:           8
        .value_kind:     global_buffer
      - .offset:         64
        .size:           8
        .value_kind:     by_value
      - .offset:         72
        .size:           8
        .value_kind:     by_value
      - .offset:         80
        .size:           8
        .value_kind:     by_value
      - .address_space:  global
        .offset:         88
        .size:           8
        .value_kind:     global_buffer
      - .offset:         96
        .size:           8
        .value_kind:     by_value
      - .address_space:  global
        .offset:         104
        .size:           8
        .value_kind:     global_buffer
      - .offset:         112
        .size:           8
        .value_kind:     by_value
      - .offset:         120
        .size:           8
        .value_kind:     by_value
      - .offset:         128
        .size:           8
        .value_kind:     by_value
      - .offset:         136
        .size:           4
        .value_kind:     by_value
      - .offset:         144
        .size:           4
        .value_kind:     hidden_block_count_x
      - .offset:         148
        .size:           4
        .value_kind:     hidden_block_count_y
      - .offset:         152
        .size:           4
        .value_kind:     hidden_block_count_z
      - .offset:         156
        .size:           2
        .value_kind:     hidden_group_size_x
      - .offset:         158
        .size:           2
        .value_kind:     hidden_group_size_y
      - .offset:         160
        .size:           2
        .value_kind:     hidden_group_size_z
      - .offset:         162
        .size:           2
        .value_kind:     hidden_remainder_x
      - .offset:         164
        .size:           2
        .value_kind:     hidden_remainder_y
      - .offset:         166
        .size:           2
        .value_kind:     hidden_remainder_z
      - .offset:         184
        .size:           8
        .value_kind:     hidden_global_offset_x
      - .offset:         192
        .size:           8
        .value_kind:     hidden_global_offset_y
      - .offset:         200
        .size:           8
        .value_kind:     hidden_global_offset_z
      - .offset:         208
        .size:           2
        .value_kind:     hidden_grid_dims
    .group_segment_fixed_size: 8192
    .kernarg_segment_align: 8
    .kernarg_segment_size: 400
    .language:       OpenCL C
    .language_version:
      - 2
      - 0
    .max_flat_workgroup_size: 1024
    .name:           _ZL19rocblas_sbmv_kernelILb0ELi64ELi16EPKdPKS1_PKPdEviiT2_lT3_lllS8_lllS7_lT4_llli
    .private_segment_fixed_size: 0
    .sgpr_count:     34
    .sgpr_spill_count: 0
    .symbol:         _ZL19rocblas_sbmv_kernelILb0ELi64ELi16EPKdPKS1_PKPdEviiT2_lT3_lllS8_lllS7_lT4_llli.kd
    .uniform_work_group_size: 1
    .uses_dynamic_stack: false
    .vgpr_count:     21
    .vgpr_spill_count: 0
    .wavefront_size: 32
    .workgroup_processor_mode: 1
  - .args:
      - .offset:         0
        .size:           4
        .value_kind:     by_value
      - .offset:         4
        .size:           4
        .value_kind:     by_value
      - .offset:         8
        .size:           8
        .value_kind:     by_value
      - .offset:         16
        .size:           8
        .value_kind:     by_value
      - .address_space:  global
        .offset:         24
        .size:           8
        .value_kind:     global_buffer
      - .offset:         32
        .size:           8
        .value_kind:     by_value
      - .offset:         40
        .size:           8
        .value_kind:     by_value
      - .offset:         48
        .size:           8
        .value_kind:     by_value
      - .address_space:  global
        .offset:         56
        .size:           8
        .value_kind:     global_buffer
      - .offset:         64
        .size:           8
        .value_kind:     by_value
      - .offset:         72
        .size:           8
        .value_kind:     by_value
      - .offset:         80
        .size:           8
        .value_kind:     by_value
      - .offset:         88
        .size:           8
        .value_kind:     by_value
      - .offset:         96
        .size:           8
        .value_kind:     by_value
      - .address_space:  global
        .offset:         104
        .size:           8
        .value_kind:     global_buffer
      - .offset:         112
        .size:           8
        .value_kind:     by_value
      - .offset:         120
        .size:           8
        .value_kind:     by_value
      - .offset:         128
        .size:           8
        .value_kind:     by_value
      - .offset:         136
        .size:           4
        .value_kind:     by_value
      - .offset:         144
        .size:           4
        .value_kind:     hidden_block_count_x
      - .offset:         148
        .size:           4
        .value_kind:     hidden_block_count_y
      - .offset:         152
        .size:           4
        .value_kind:     hidden_block_count_z
      - .offset:         156
        .size:           2
        .value_kind:     hidden_group_size_x
      - .offset:         158
        .size:           2
        .value_kind:     hidden_group_size_y
      - .offset:         160
        .size:           2
        .value_kind:     hidden_group_size_z
      - .offset:         162
        .size:           2
        .value_kind:     hidden_remainder_x
      - .offset:         164
        .size:           2
        .value_kind:     hidden_remainder_y
      - .offset:         166
        .size:           2
        .value_kind:     hidden_remainder_z
      - .offset:         184
        .size:           8
        .value_kind:     hidden_global_offset_x
      - .offset:         192
        .size:           8
        .value_kind:     hidden_global_offset_y
      - .offset:         200
        .size:           8
        .value_kind:     hidden_global_offset_z
      - .offset:         208
        .size:           2
        .value_kind:     hidden_grid_dims
    .group_segment_fixed_size: 8192
    .kernarg_segment_align: 8
    .kernarg_segment_size: 400
    .language:       OpenCL C
    .language_version:
      - 2
      - 0
    .max_flat_workgroup_size: 1024
    .name:           _ZL19rocblas_sbmv_kernelILb1ELi64ELi16EdPKPKdPKPdEviiT2_lT3_lllS8_lllS7_lT4_llli
    .private_segment_fixed_size: 0
    .sgpr_count:     30
    .sgpr_spill_count: 0
    .symbol:         _ZL19rocblas_sbmv_kernelILb1ELi64ELi16EdPKPKdPKPdEviiT2_lT3_lllS8_lllS7_lT4_llli.kd
    .uniform_work_group_size: 1
    .uses_dynamic_stack: false
    .vgpr_count:     21
    .vgpr_spill_count: 0
    .wavefront_size: 32
    .workgroup_processor_mode: 1
  - .args:
      - .offset:         0
        .size:           4
        .value_kind:     by_value
      - .offset:         4
        .size:           4
        .value_kind:     by_value
      - .offset:         8
        .size:           8
        .value_kind:     by_value
      - .offset:         16
        .size:           8
        .value_kind:     by_value
      - .address_space:  global
        .offset:         24
        .size:           8
        .value_kind:     global_buffer
      - .offset:         32
        .size:           8
        .value_kind:     by_value
      - .offset:         40
        .size:           8
        .value_kind:     by_value
      - .offset:         48
        .size:           8
        .value_kind:     by_value
      - .address_space:  global
        .offset:         56
        .size:           8
        .value_kind:     global_buffer
      - .offset:         64
        .size:           8
        .value_kind:     by_value
      - .offset:         72
        .size:           8
        .value_kind:     by_value
      - .offset:         80
        .size:           8
        .value_kind:     by_value
      - .offset:         88
        .size:           8
        .value_kind:     by_value
      - .offset:         96
        .size:           8
        .value_kind:     by_value
      - .address_space:  global
        .offset:         104
        .size:           8
        .value_kind:     global_buffer
      - .offset:         112
        .size:           8
        .value_kind:     by_value
      - .offset:         120
        .size:           8
        .value_kind:     by_value
      - .offset:         128
        .size:           8
        .value_kind:     by_value
      - .offset:         136
        .size:           4
        .value_kind:     by_value
      - .offset:         144
        .size:           4
        .value_kind:     hidden_block_count_x
      - .offset:         148
        .size:           4
        .value_kind:     hidden_block_count_y
      - .offset:         152
        .size:           4
        .value_kind:     hidden_block_count_z
      - .offset:         156
        .size:           2
        .value_kind:     hidden_group_size_x
      - .offset:         158
        .size:           2
        .value_kind:     hidden_group_size_y
      - .offset:         160
        .size:           2
        .value_kind:     hidden_group_size_z
      - .offset:         162
        .size:           2
        .value_kind:     hidden_remainder_x
      - .offset:         164
        .size:           2
        .value_kind:     hidden_remainder_y
      - .offset:         166
        .size:           2
        .value_kind:     hidden_remainder_z
      - .offset:         184
        .size:           8
        .value_kind:     hidden_global_offset_x
      - .offset:         192
        .size:           8
        .value_kind:     hidden_global_offset_y
      - .offset:         200
        .size:           8
        .value_kind:     hidden_global_offset_z
      - .offset:         208
        .size:           2
        .value_kind:     hidden_grid_dims
    .group_segment_fixed_size: 8192
    .kernarg_segment_align: 8
    .kernarg_segment_size: 400
    .language:       OpenCL C
    .language_version:
      - 2
      - 0
    .max_flat_workgroup_size: 1024
    .name:           _ZL19rocblas_sbmv_kernelILb0ELi64ELi16EdPKPKdPKPdEviiT2_lT3_lllS8_lllS7_lT4_llli
    .private_segment_fixed_size: 0
    .sgpr_count:     30
    .sgpr_spill_count: 0
    .symbol:         _ZL19rocblas_sbmv_kernelILb0ELi64ELi16EdPKPKdPKPdEviiT2_lT3_lllS8_lllS7_lT4_llli.kd
    .uniform_work_group_size: 1
    .uses_dynamic_stack: false
    .vgpr_count:     21
    .vgpr_spill_count: 0
    .wavefront_size: 32
    .workgroup_processor_mode: 1
amdhsa.target:   amdgcn-amd-amdhsa--gfx1100
amdhsa.version:
  - 1
  - 2
...

	.end_amdgpu_metadata
